;; amdgpu-corpus repo=ROCm/rocFFT kind=compiled arch=gfx906 opt=O3
	.text
	.amdgcn_target "amdgcn-amd-amdhsa--gfx906"
	.amdhsa_code_object_version 6
	.protected	fft_rtc_fwd_len1716_factors_13_2_6_11_wgs_156_tpt_156_dp_ip_CI_unitstride_sbrr_C2R_dirReg ; -- Begin function fft_rtc_fwd_len1716_factors_13_2_6_11_wgs_156_tpt_156_dp_ip_CI_unitstride_sbrr_C2R_dirReg
	.globl	fft_rtc_fwd_len1716_factors_13_2_6_11_wgs_156_tpt_156_dp_ip_CI_unitstride_sbrr_C2R_dirReg
	.p2align	8
	.type	fft_rtc_fwd_len1716_factors_13_2_6_11_wgs_156_tpt_156_dp_ip_CI_unitstride_sbrr_C2R_dirReg,@function
fft_rtc_fwd_len1716_factors_13_2_6_11_wgs_156_tpt_156_dp_ip_CI_unitstride_sbrr_C2R_dirReg: ; @fft_rtc_fwd_len1716_factors_13_2_6_11_wgs_156_tpt_156_dp_ip_CI_unitstride_sbrr_C2R_dirReg
; %bb.0:
	s_load_dwordx2 s[12:13], s[4:5], 0x50
	s_load_dwordx4 s[8:11], s[4:5], 0x0
	s_load_dwordx2 s[2:3], s[4:5], 0x18
	v_mul_u32_u24_e32 v1, 0x1a5, v0
	v_add_u32_sdwa v5, s6, v1 dst_sel:DWORD dst_unused:UNUSED_PAD src0_sel:DWORD src1_sel:WORD_1
	v_mov_b32_e32 v3, 0
	s_waitcnt lgkmcnt(0)
	v_cmp_lt_u64_e64 s[0:1], s[10:11], 2
	v_mov_b32_e32 v1, 0
	v_mov_b32_e32 v6, v3
	s_and_b64 vcc, exec, s[0:1]
	v_mov_b32_e32 v2, 0
	s_cbranch_vccnz .LBB0_8
; %bb.1:
	s_load_dwordx2 s[0:1], s[4:5], 0x10
	s_add_u32 s6, s2, 8
	s_addc_u32 s7, s3, 0
	v_mov_b32_e32 v1, 0
	v_mov_b32_e32 v2, 0
	s_waitcnt lgkmcnt(0)
	s_add_u32 s14, s0, 8
	s_addc_u32 s15, s1, 0
	s_mov_b64 s[16:17], 1
.LBB0_2:                                ; =>This Inner Loop Header: Depth=1
	s_load_dwordx2 s[18:19], s[14:15], 0x0
                                        ; implicit-def: $vgpr7_vgpr8
	s_waitcnt lgkmcnt(0)
	v_or_b32_e32 v4, s19, v6
	v_cmp_ne_u64_e32 vcc, 0, v[3:4]
	s_and_saveexec_b64 s[0:1], vcc
	s_xor_b64 s[20:21], exec, s[0:1]
	s_cbranch_execz .LBB0_4
; %bb.3:                                ;   in Loop: Header=BB0_2 Depth=1
	v_cvt_f32_u32_e32 v4, s18
	v_cvt_f32_u32_e32 v7, s19
	s_sub_u32 s0, 0, s18
	s_subb_u32 s1, 0, s19
	v_mac_f32_e32 v4, 0x4f800000, v7
	v_rcp_f32_e32 v4, v4
	v_mul_f32_e32 v4, 0x5f7ffffc, v4
	v_mul_f32_e32 v7, 0x2f800000, v4
	v_trunc_f32_e32 v7, v7
	v_mac_f32_e32 v4, 0xcf800000, v7
	v_cvt_u32_f32_e32 v7, v7
	v_cvt_u32_f32_e32 v4, v4
	v_mul_lo_u32 v8, s0, v7
	v_mul_hi_u32 v9, s0, v4
	v_mul_lo_u32 v11, s1, v4
	v_mul_lo_u32 v10, s0, v4
	v_add_u32_e32 v8, v9, v8
	v_add_u32_e32 v8, v8, v11
	v_mul_hi_u32 v9, v4, v10
	v_mul_lo_u32 v11, v4, v8
	v_mul_hi_u32 v13, v4, v8
	v_mul_hi_u32 v12, v7, v10
	v_mul_lo_u32 v10, v7, v10
	v_mul_hi_u32 v14, v7, v8
	v_add_co_u32_e32 v9, vcc, v9, v11
	v_addc_co_u32_e32 v11, vcc, 0, v13, vcc
	v_mul_lo_u32 v8, v7, v8
	v_add_co_u32_e32 v9, vcc, v9, v10
	v_addc_co_u32_e32 v9, vcc, v11, v12, vcc
	v_addc_co_u32_e32 v10, vcc, 0, v14, vcc
	v_add_co_u32_e32 v8, vcc, v9, v8
	v_addc_co_u32_e32 v9, vcc, 0, v10, vcc
	v_add_co_u32_e32 v4, vcc, v4, v8
	v_addc_co_u32_e32 v7, vcc, v7, v9, vcc
	v_mul_lo_u32 v8, s0, v7
	v_mul_hi_u32 v9, s0, v4
	v_mul_lo_u32 v10, s1, v4
	v_mul_lo_u32 v11, s0, v4
	v_add_u32_e32 v8, v9, v8
	v_add_u32_e32 v8, v8, v10
	v_mul_lo_u32 v12, v4, v8
	v_mul_hi_u32 v13, v4, v11
	v_mul_hi_u32 v14, v4, v8
	;; [unrolled: 1-line block ×3, first 2 shown]
	v_mul_lo_u32 v11, v7, v11
	v_mul_hi_u32 v9, v7, v8
	v_add_co_u32_e32 v12, vcc, v13, v12
	v_addc_co_u32_e32 v13, vcc, 0, v14, vcc
	v_mul_lo_u32 v8, v7, v8
	v_add_co_u32_e32 v11, vcc, v12, v11
	v_addc_co_u32_e32 v10, vcc, v13, v10, vcc
	v_addc_co_u32_e32 v9, vcc, 0, v9, vcc
	v_add_co_u32_e32 v8, vcc, v10, v8
	v_addc_co_u32_e32 v9, vcc, 0, v9, vcc
	v_add_co_u32_e32 v4, vcc, v4, v8
	v_addc_co_u32_e32 v9, vcc, v7, v9, vcc
	v_mad_u64_u32 v[7:8], s[0:1], v5, v9, 0
	v_mul_hi_u32 v10, v5, v4
	v_add_co_u32_e32 v11, vcc, v10, v7
	v_addc_co_u32_e32 v12, vcc, 0, v8, vcc
	v_mad_u64_u32 v[7:8], s[0:1], v6, v4, 0
	v_mad_u64_u32 v[9:10], s[0:1], v6, v9, 0
	v_add_co_u32_e32 v4, vcc, v11, v7
	v_addc_co_u32_e32 v4, vcc, v12, v8, vcc
	v_addc_co_u32_e32 v7, vcc, 0, v10, vcc
	v_add_co_u32_e32 v4, vcc, v4, v9
	v_addc_co_u32_e32 v9, vcc, 0, v7, vcc
	v_mul_lo_u32 v10, s19, v4
	v_mul_lo_u32 v11, s18, v9
	v_mad_u64_u32 v[7:8], s[0:1], s18, v4, 0
	v_add3_u32 v8, v8, v11, v10
	v_sub_u32_e32 v10, v6, v8
	v_mov_b32_e32 v11, s19
	v_sub_co_u32_e32 v7, vcc, v5, v7
	v_subb_co_u32_e64 v10, s[0:1], v10, v11, vcc
	v_subrev_co_u32_e64 v11, s[0:1], s18, v7
	v_subbrev_co_u32_e64 v10, s[0:1], 0, v10, s[0:1]
	v_cmp_le_u32_e64 s[0:1], s19, v10
	v_cndmask_b32_e64 v12, 0, -1, s[0:1]
	v_cmp_le_u32_e64 s[0:1], s18, v11
	v_cndmask_b32_e64 v11, 0, -1, s[0:1]
	v_cmp_eq_u32_e64 s[0:1], s19, v10
	v_cndmask_b32_e64 v10, v12, v11, s[0:1]
	v_add_co_u32_e64 v11, s[0:1], 2, v4
	v_addc_co_u32_e64 v12, s[0:1], 0, v9, s[0:1]
	v_add_co_u32_e64 v13, s[0:1], 1, v4
	v_addc_co_u32_e64 v14, s[0:1], 0, v9, s[0:1]
	v_subb_co_u32_e32 v8, vcc, v6, v8, vcc
	v_cmp_ne_u32_e64 s[0:1], 0, v10
	v_cmp_le_u32_e32 vcc, s19, v8
	v_cndmask_b32_e64 v10, v14, v12, s[0:1]
	v_cndmask_b32_e64 v12, 0, -1, vcc
	v_cmp_le_u32_e32 vcc, s18, v7
	v_cndmask_b32_e64 v7, 0, -1, vcc
	v_cmp_eq_u32_e32 vcc, s19, v8
	v_cndmask_b32_e32 v7, v12, v7, vcc
	v_cmp_ne_u32_e32 vcc, 0, v7
	v_cndmask_b32_e64 v7, v13, v11, s[0:1]
	v_cndmask_b32_e32 v8, v9, v10, vcc
	v_cndmask_b32_e32 v7, v4, v7, vcc
.LBB0_4:                                ;   in Loop: Header=BB0_2 Depth=1
	s_andn2_saveexec_b64 s[0:1], s[20:21]
	s_cbranch_execz .LBB0_6
; %bb.5:                                ;   in Loop: Header=BB0_2 Depth=1
	v_cvt_f32_u32_e32 v4, s18
	s_sub_i32 s20, 0, s18
	v_rcp_iflag_f32_e32 v4, v4
	v_mul_f32_e32 v4, 0x4f7ffffe, v4
	v_cvt_u32_f32_e32 v4, v4
	v_mul_lo_u32 v7, s20, v4
	v_mul_hi_u32 v7, v4, v7
	v_add_u32_e32 v4, v4, v7
	v_mul_hi_u32 v4, v5, v4
	v_mul_lo_u32 v7, v4, s18
	v_add_u32_e32 v8, 1, v4
	v_sub_u32_e32 v7, v5, v7
	v_subrev_u32_e32 v9, s18, v7
	v_cmp_le_u32_e32 vcc, s18, v7
	v_cndmask_b32_e32 v7, v7, v9, vcc
	v_cndmask_b32_e32 v4, v4, v8, vcc
	v_add_u32_e32 v8, 1, v4
	v_cmp_le_u32_e32 vcc, s18, v7
	v_cndmask_b32_e32 v7, v4, v8, vcc
	v_mov_b32_e32 v8, v3
.LBB0_6:                                ;   in Loop: Header=BB0_2 Depth=1
	s_or_b64 exec, exec, s[0:1]
	v_mul_lo_u32 v4, v8, s18
	v_mul_lo_u32 v11, v7, s19
	v_mad_u64_u32 v[9:10], s[0:1], v7, s18, 0
	s_load_dwordx2 s[0:1], s[6:7], 0x0
	s_add_u32 s16, s16, 1
	v_add3_u32 v4, v10, v11, v4
	v_sub_co_u32_e32 v5, vcc, v5, v9
	v_subb_co_u32_e32 v4, vcc, v6, v4, vcc
	s_waitcnt lgkmcnt(0)
	v_mul_lo_u32 v4, s0, v4
	v_mul_lo_u32 v6, s1, v5
	v_mad_u64_u32 v[1:2], s[0:1], s0, v5, v[1:2]
	s_addc_u32 s17, s17, 0
	s_add_u32 s6, s6, 8
	v_add3_u32 v2, v6, v2, v4
	v_mov_b32_e32 v4, s10
	v_mov_b32_e32 v5, s11
	s_addc_u32 s7, s7, 0
	v_cmp_ge_u64_e32 vcc, s[16:17], v[4:5]
	s_add_u32 s14, s14, 8
	s_addc_u32 s15, s15, 0
	s_cbranch_vccnz .LBB0_9
; %bb.7:                                ;   in Loop: Header=BB0_2 Depth=1
	v_mov_b32_e32 v5, v7
	v_mov_b32_e32 v6, v8
	s_branch .LBB0_2
.LBB0_8:
	v_mov_b32_e32 v8, v6
	v_mov_b32_e32 v7, v5
.LBB0_9:
	s_lshl_b64 s[0:1], s[10:11], 3
	s_add_u32 s0, s2, s0
	s_addc_u32 s1, s3, s1
	s_load_dwordx2 s[2:3], s[0:1], 0x0
	s_load_dwordx2 s[6:7], s[4:5], 0x20
	s_waitcnt lgkmcnt(0)
	v_mad_u64_u32 v[1:2], s[0:1], s2, v7, v[1:2]
	v_mul_lo_u32 v3, s2, v8
	v_mul_lo_u32 v4, s3, v7
	s_mov_b32 s0, 0x1a41a42
	v_mul_hi_u32 v5, v0, s0
	v_cmp_gt_u64_e64 s[0:1], s[6:7], v[7:8]
	v_add3_u32 v2, v4, v2, v3
	v_lshlrev_b64 v[66:67], 4, v[1:2]
	v_mul_u32_u24_e32 v3, 0x9c, v5
	v_sub_u32_e32 v64, v0, v3
	s_and_saveexec_b64 s[2:3], s[0:1]
	s_cbranch_execz .LBB0_13
; %bb.10:
	v_mov_b32_e32 v65, 0
	v_mov_b32_e32 v0, s13
	v_add_co_u32_e32 v1, vcc, s12, v66
	v_lshlrev_b64 v[2:3], 4, v[64:65]
	v_addc_co_u32_e32 v0, vcc, v0, v67, vcc
	v_add_co_u32_e32 v41, vcc, v1, v2
	v_addc_co_u32_e32 v42, vcc, v0, v3, vcc
	v_add_co_u32_e32 v18, vcc, 0x1000, v41
	;; [unrolled: 2-line block ×6, first 2 shown]
	v_addc_co_u32_e32 v46, vcc, 0, v42, vcc
	global_load_dwordx4 v[2:5], v[41:42], off
	global_load_dwordx4 v[6:9], v[41:42], off offset:2496
	global_load_dwordx4 v[10:13], v[18:19], off offset:896
	;; [unrolled: 1-line block ×3, first 2 shown]
	s_nop 0
	global_load_dwordx4 v[18:21], v[26:27], off offset:1792
	global_load_dwordx4 v[22:25], v[34:35], off offset:192
	s_nop 0
	global_load_dwordx4 v[26:29], v[34:35], off offset:2688
	global_load_dwordx4 v[30:33], v[43:44], off offset:1088
	v_add_co_u32_e32 v47, vcc, 0x6000, v41
	global_load_dwordx4 v[34:37], v[43:44], off offset:3584
	global_load_dwordx4 v[38:41], v[45:46], off offset:1984
	v_addc_co_u32_e32 v48, vcc, 0, v42, vcc
	global_load_dwordx4 v[42:45], v[47:48], off offset:384
	s_movk_i32 s4, 0x9b
	v_lshl_add_u32 v46, v64, 4, 0
	v_cmp_eq_u32_e32 vcc, s4, v64
	s_waitcnt vmcnt(10)
	ds_write_b128 v46, v[2:5]
	s_waitcnt vmcnt(9)
	ds_write_b128 v46, v[6:9] offset:2496
	s_waitcnt vmcnt(8)
	ds_write_b128 v46, v[10:13] offset:4992
	;; [unrolled: 2-line block ×10, first 2 shown]
	s_and_saveexec_b64 s[4:5], vcc
	s_cbranch_execz .LBB0_12
; %bb.11:
	v_add_co_u32_e32 v1, vcc, 0x6000, v1
	v_addc_co_u32_e32 v2, vcc, 0, v0, vcc
	global_load_dwordx4 v[0:3], v[1:2], off offset:2880
	v_mov_b32_e32 v64, 0x9b
	s_waitcnt vmcnt(0)
	ds_write_b128 v65, v[0:3] offset:27456
.LBB0_12:
	s_or_b64 exec, exec, s[4:5]
.LBB0_13:
	s_or_b64 exec, exec, s[2:3]
	v_lshlrev_b32_e32 v0, 4, v64
	v_add_u32_e32 v170, 0, v0
	s_waitcnt lgkmcnt(0)
	s_barrier
	v_sub_u32_e32 v10, 0, v0
	ds_read_b64 v[6:7], v170
	ds_read_b64 v[8:9], v10 offset:27456
	s_add_u32 s4, s8, 0x6a70
	s_addc_u32 s5, s9, 0
	v_cmp_ne_u32_e32 vcc, 0, v64
                                        ; implicit-def: $vgpr4_vgpr5
	s_waitcnt lgkmcnt(0)
	v_add_f64 v[0:1], v[6:7], v[8:9]
	v_add_f64 v[2:3], v[6:7], -v[8:9]
	s_and_saveexec_b64 s[2:3], vcc
	s_xor_b64 s[2:3], exec, s[2:3]
	s_cbranch_execz .LBB0_15
; %bb.14:
	v_mov_b32_e32 v65, 0
	v_lshlrev_b64 v[0:1], 4, v[64:65]
	v_mov_b32_e32 v2, s5
	v_add_co_u32_e32 v0, vcc, s4, v0
	v_addc_co_u32_e32 v1, vcc, v2, v1, vcc
	global_load_dwordx4 v[2:5], v[0:1], off
	ds_read_b64 v[0:1], v10 offset:27464
	ds_read_b64 v[11:12], v170 offset:8
	v_add_f64 v[13:14], v[6:7], v[8:9]
	v_add_f64 v[8:9], v[6:7], -v[8:9]
	s_waitcnt lgkmcnt(0)
	v_add_f64 v[15:16], v[0:1], v[11:12]
	v_add_f64 v[0:1], v[11:12], -v[0:1]
	s_waitcnt vmcnt(0)
	v_fma_f64 v[6:7], -v[8:9], v[4:5], v[13:14]
	v_fma_f64 v[11:12], v[15:16], v[4:5], -v[0:1]
	v_fma_f64 v[13:14], v[8:9], v[4:5], v[13:14]
	v_fma_f64 v[17:18], v[15:16], v[4:5], v[0:1]
	;; [unrolled: 1-line block ×4, first 2 shown]
	v_fma_f64 v[0:1], -v[15:16], v[2:3], v[13:14]
	v_fma_f64 v[2:3], v[8:9], v[2:3], v[17:18]
	ds_write_b128 v10, v[4:7] offset:27456
	v_mov_b32_e32 v4, v64
	v_mov_b32_e32 v5, v65
.LBB0_15:
	s_andn2_saveexec_b64 s[2:3], s[2:3]
	s_cbranch_execz .LBB0_17
; %bb.16:
	v_mov_b32_e32 v8, 0
	ds_read_b128 v[4:7], v8 offset:13728
	s_waitcnt lgkmcnt(0)
	v_add_f64 v[11:12], v[4:5], v[4:5]
	v_mul_f64 v[13:14], v[6:7], -2.0
	v_mov_b32_e32 v4, 0
	v_mov_b32_e32 v5, 0
	ds_write_b128 v8, v[11:14] offset:13728
.LBB0_17:
	s_or_b64 exec, exec, s[2:3]
	v_lshlrev_b64 v[4:5], 4, v[4:5]
	v_mov_b32_e32 v6, s5
	v_add_co_u32_e32 v4, vcc, s4, v4
	v_addc_co_u32_e32 v5, vcc, v6, v5, vcc
	global_load_dwordx4 v[6:9], v[4:5], off offset:2496
	s_movk_i32 s2, 0x1000
	v_add_co_u32_e32 v19, vcc, s2, v4
	v_addc_co_u32_e32 v20, vcc, 0, v5, vcc
	global_load_dwordx4 v[11:14], v[19:20], off offset:896
	ds_write_b128 v170, v[0:3]
	ds_read_b128 v[0:3], v170 offset:2496
	ds_read_b128 v[15:18], v10 offset:24960
	global_load_dwordx4 v[19:22], v[19:20], off offset:3392
	s_movk_i32 s2, 0x2000
	s_waitcnt lgkmcnt(0)
	v_add_f64 v[23:24], v[0:1], v[15:16]
	v_add_f64 v[25:26], v[17:18], v[2:3]
	v_add_f64 v[27:28], v[0:1], -v[15:16]
	v_add_f64 v[0:1], v[2:3], -v[17:18]
	s_waitcnt vmcnt(2)
	v_fma_f64 v[2:3], v[27:28], v[8:9], v[23:24]
	v_fma_f64 v[15:16], v[25:26], v[8:9], v[0:1]
	v_fma_f64 v[17:18], -v[27:28], v[8:9], v[23:24]
	v_fma_f64 v[8:9], v[25:26], v[8:9], -v[0:1]
	v_fma_f64 v[0:1], -v[25:26], v[6:7], v[2:3]
	v_fma_f64 v[2:3], v[27:28], v[6:7], v[15:16]
	v_fma_f64 v[15:16], v[25:26], v[6:7], v[17:18]
	;; [unrolled: 1-line block ×3, first 2 shown]
	ds_write_b128 v170, v[0:3] offset:2496
	ds_write_b128 v10, v[15:18] offset:24960
	v_add_co_u32_e32 v15, vcc, s2, v4
	v_addc_co_u32_e32 v16, vcc, 0, v5, vcc
	ds_read_b128 v[0:3], v170 offset:4992
	ds_read_b128 v[6:9], v10 offset:22464
	global_load_dwordx4 v[15:18], v[15:16], off offset:1792
	s_movk_i32 s2, 0x4e
	v_cmp_gt_u32_e32 vcc, s2, v64
	s_waitcnt lgkmcnt(0)
	v_add_f64 v[23:24], v[0:1], v[6:7]
	v_add_f64 v[25:26], v[8:9], v[2:3]
	v_add_f64 v[27:28], v[0:1], -v[6:7]
	v_add_f64 v[0:1], v[2:3], -v[8:9]
	s_waitcnt vmcnt(2)
	v_fma_f64 v[2:3], v[27:28], v[13:14], v[23:24]
	v_fma_f64 v[6:7], v[25:26], v[13:14], v[0:1]
	v_fma_f64 v[8:9], -v[27:28], v[13:14], v[23:24]
	v_fma_f64 v[13:14], v[25:26], v[13:14], -v[0:1]
	v_fma_f64 v[0:1], -v[25:26], v[11:12], v[2:3]
	v_fma_f64 v[2:3], v[27:28], v[11:12], v[6:7]
	v_fma_f64 v[6:7], v[25:26], v[11:12], v[8:9]
	;; [unrolled: 1-line block ×3, first 2 shown]
	ds_write_b128 v170, v[0:3] offset:4992
	ds_write_b128 v10, v[6:9] offset:22464
	ds_read_b128 v[0:3], v170 offset:7488
	ds_read_b128 v[6:9], v10 offset:19968
	s_waitcnt lgkmcnt(0)
	v_add_f64 v[11:12], v[0:1], v[6:7]
	v_add_f64 v[13:14], v[8:9], v[2:3]
	v_add_f64 v[23:24], v[0:1], -v[6:7]
	v_add_f64 v[0:1], v[2:3], -v[8:9]
	s_waitcnt vmcnt(1)
	v_fma_f64 v[2:3], v[23:24], v[21:22], v[11:12]
	v_fma_f64 v[6:7], v[13:14], v[21:22], v[0:1]
	v_fma_f64 v[8:9], -v[23:24], v[21:22], v[11:12]
	v_fma_f64 v[11:12], v[13:14], v[21:22], -v[0:1]
	v_fma_f64 v[0:1], -v[13:14], v[19:20], v[2:3]
	v_fma_f64 v[2:3], v[23:24], v[19:20], v[6:7]
	v_fma_f64 v[6:7], v[13:14], v[19:20], v[8:9]
	;; [unrolled: 1-line block ×3, first 2 shown]
	ds_write_b128 v170, v[0:3] offset:7488
	ds_write_b128 v10, v[6:9] offset:19968
	ds_read_b128 v[0:3], v170 offset:9984
	ds_read_b128 v[6:9], v10 offset:17472
	s_waitcnt lgkmcnt(0)
	v_add_f64 v[11:12], v[0:1], v[6:7]
	v_add_f64 v[13:14], v[8:9], v[2:3]
	v_add_f64 v[19:20], v[0:1], -v[6:7]
	v_add_f64 v[0:1], v[2:3], -v[8:9]
	s_waitcnt vmcnt(0)
	v_fma_f64 v[2:3], v[19:20], v[17:18], v[11:12]
	v_fma_f64 v[6:7], v[13:14], v[17:18], v[0:1]
	v_fma_f64 v[8:9], -v[19:20], v[17:18], v[11:12]
	v_fma_f64 v[11:12], v[13:14], v[17:18], -v[0:1]
	v_fma_f64 v[0:1], -v[13:14], v[15:16], v[2:3]
	v_fma_f64 v[2:3], v[19:20], v[15:16], v[6:7]
	v_fma_f64 v[6:7], v[13:14], v[15:16], v[8:9]
	;; [unrolled: 1-line block ×3, first 2 shown]
	ds_write_b128 v170, v[0:3] offset:9984
	ds_write_b128 v10, v[6:9] offset:17472
	s_and_saveexec_b64 s[4:5], vcc
	s_cbranch_execz .LBB0_19
; %bb.18:
	s_movk_i32 s2, 0x3000
	v_add_co_u32_e64 v0, s[2:3], s2, v4
	v_addc_co_u32_e64 v1, s[2:3], 0, v5, s[2:3]
	global_load_dwordx4 v[0:3], v[0:1], off offset:192
	ds_read_b128 v[4:7], v170 offset:12480
	ds_read_b128 v[11:14], v10 offset:14976
	s_waitcnt lgkmcnt(0)
	v_add_f64 v[8:9], v[4:5], v[11:12]
	v_add_f64 v[15:16], v[13:14], v[6:7]
	v_add_f64 v[11:12], v[4:5], -v[11:12]
	v_add_f64 v[4:5], v[6:7], -v[13:14]
	s_waitcnt vmcnt(0)
	v_fma_f64 v[6:7], v[11:12], v[2:3], v[8:9]
	v_fma_f64 v[13:14], v[15:16], v[2:3], v[4:5]
	v_fma_f64 v[8:9], -v[11:12], v[2:3], v[8:9]
	v_fma_f64 v[17:18], v[15:16], v[2:3], -v[4:5]
	v_fma_f64 v[2:3], -v[15:16], v[0:1], v[6:7]
	v_fma_f64 v[4:5], v[11:12], v[0:1], v[13:14]
	v_fma_f64 v[6:7], v[15:16], v[0:1], v[8:9]
	;; [unrolled: 1-line block ×3, first 2 shown]
	ds_write_b128 v170, v[2:5] offset:12480
	ds_write_b128 v10, v[6:9] offset:14976
.LBB0_19:
	s_or_b64 exec, exec, s[4:5]
	s_waitcnt lgkmcnt(0)
	s_barrier
	s_barrier
	ds_read_b128 v[8:11], v170 offset:25344
	ds_read_b128 v[16:19], v170 offset:2112
	ds_read_b128 v[20:23], v170
	ds_read_b128 v[12:15], v170 offset:23232
	ds_read_b128 v[28:31], v170 offset:4224
	s_mov_b32 s4, 0x42a4c3d2
	s_mov_b32 s5, 0xbfea55e2
	s_waitcnt lgkmcnt(3)
	v_add_f64 v[70:71], v[18:19], -v[10:11]
	v_add_f64 v[68:69], v[16:17], v[8:9]
	s_waitcnt lgkmcnt(0)
	v_add_f64 v[74:75], v[30:31], -v[14:15]
	v_add_f64 v[76:77], v[16:17], -v[8:9]
	s_mov_b32 s14, 0x1ea71119
	s_mov_b32 s10, 0x2ef20147
	;; [unrolled: 1-line block ×4, first 2 shown]
	v_mul_f64 v[92:93], v[70:71], s[4:5]
	s_mov_b32 s11, 0xbfedeba7
	s_mov_b32 s23, 0xbfefc445
	v_add_f64 v[72:73], v[28:29], v[12:13]
	v_mul_f64 v[98:99], v[74:75], s[10:11]
	v_add_f64 v[100:101], v[18:19], v[10:11]
	v_mul_f64 v[114:115], v[76:77], s[4:5]
	v_add_f64 v[78:79], v[28:29], -v[12:13]
	v_fma_f64 v[0:1], v[68:69], s[14:15], v[92:93]
	v_mul_f64 v[146:147], v[70:71], s[22:23]
	v_mul_f64 v[160:161], v[76:77], s[22:23]
	ds_read_b128 v[32:35], v170 offset:6336
	ds_read_b128 v[24:27], v170 offset:21120
	s_mov_b32 s6, 0xb2365da1
	s_mov_b32 s16, 0x4bc48dbf
	;; [unrolled: 1-line block ×6, first 2 shown]
	v_add_f64 v[0:1], v[20:21], v[0:1]
	s_waitcnt lgkmcnt(0)
	v_add_f64 v[82:83], v[34:35], -v[26:27]
	v_fma_f64 v[2:3], v[72:73], s[6:7], v[98:99]
	v_fma_f64 v[4:5], v[100:101], s[14:15], -v[114:115]
	v_add_f64 v[104:105], v[30:31], v[14:15]
	v_mul_f64 v[116:117], v[78:79], s[10:11]
	v_add_f64 v[84:85], v[32:33], -v[24:25]
	v_fma_f64 v[52:53], v[68:69], s[30:31], v[146:147]
	v_mul_f64 v[148:149], v[74:75], s[16:17]
	v_fma_f64 v[54:55], v[100:101], s[30:31], -v[160:161]
	v_mul_f64 v[164:165], v[78:79], s[16:17]
	ds_read_b128 v[36:39], v170 offset:19008
	ds_read_b128 v[40:43], v170 offset:8448
	s_mov_b32 s18, 0x93053d00
	s_mov_b32 s19, 0xbfef11f4
	;; [unrolled: 1-line block ×4, first 2 shown]
	v_add_f64 v[80:81], v[32:33], v[24:25]
	v_mul_f64 v[86:87], v[82:83], s[16:17]
	v_add_f64 v[0:1], v[2:3], v[0:1]
	v_add_f64 v[2:3], v[22:23], v[4:5]
	v_fma_f64 v[4:5], v[104:105], s[6:7], -v[116:117]
	v_add_f64 v[88:89], v[34:35], v[26:27]
	v_mul_f64 v[118:119], v[84:85], s[16:17]
	s_waitcnt lgkmcnt(0)
	v_add_f64 v[102:103], v[42:43], -v[38:39]
	v_add_f64 v[94:95], v[40:41], -v[36:37]
	v_add_f64 v[60:61], v[20:21], v[52:53]
	v_fma_f64 v[62:63], v[72:73], s[18:19], v[148:149]
	v_add_f64 v[120:121], v[22:23], v[54:55]
	v_fma_f64 v[122:123], v[104:105], s[18:19], -v[164:165]
	v_mul_f64 v[152:153], v[82:83], s[38:39]
	v_mul_f64 v[158:159], v[84:85], s[38:39]
	ds_read_b128 v[44:47], v170 offset:10560
	ds_read_b128 v[48:51], v170 offset:16896
	s_mov_b32 s24, 0x24c2f84
	s_mov_b32 s40, 0x4267c47c
	;; [unrolled: 1-line block ×4, first 2 shown]
	v_fma_f64 v[6:7], v[80:81], s[18:19], v[86:87]
	v_add_f64 v[2:3], v[4:5], v[2:3]
	v_fma_f64 v[4:5], v[88:89], s[18:19], -v[118:119]
	v_add_f64 v[90:91], v[40:41], v[36:37]
	v_mul_f64 v[112:113], v[102:103], s[24:25]
	v_add_f64 v[110:111], v[42:43], v[38:39]
	v_mul_f64 v[130:131], v[94:95], s[24:25]
	s_waitcnt lgkmcnt(0)
	v_add_f64 v[106:107], v[46:47], -v[50:51]
	v_add_f64 v[96:97], v[44:45], -v[48:49]
	v_add_f64 v[60:61], v[62:63], v[60:61]
	v_add_f64 v[62:63], v[122:123], v[120:121]
	v_fma_f64 v[122:123], v[80:81], s[6:7], v[152:153]
	v_fma_f64 v[132:133], v[88:89], s[6:7], -v[158:159]
	v_mul_f64 v[154:155], v[102:103], s[40:41]
	v_mul_f64 v[162:163], v[94:95], s[40:41]
	ds_read_b128 v[56:59], v170 offset:12672
	ds_read_b128 v[52:55], v170 offset:14784
	s_mov_b32 s20, 0xd0032e0c
	s_mov_b32 s36, 0xe00740e9
	s_mov_b32 s21, 0xbfe7f3cc
	s_mov_b32 s29, 0x3fefc445
	s_mov_b32 s28, s22
	s_mov_b32 s37, 0x3fec55a7
	v_add_f64 v[0:1], v[6:7], v[0:1]
	v_add_f64 v[2:3], v[4:5], v[2:3]
	v_fma_f64 v[4:5], v[90:91], s[20:21], v[112:113]
	v_fma_f64 v[6:7], v[110:111], s[20:21], -v[130:131]
	v_add_f64 v[108:109], v[44:45], v[48:49]
	v_mul_f64 v[126:127], v[106:107], s[28:29]
	v_add_f64 v[124:125], v[46:47], v[50:51]
	v_mul_f64 v[136:137], v[96:97], s[28:29]
	s_waitcnt lgkmcnt(0)
	v_add_f64 v[128:129], v[58:59], -v[54:55]
	v_add_f64 v[120:121], v[56:57], -v[52:53]
	v_add_f64 v[60:61], v[122:123], v[60:61]
	v_add_f64 v[62:63], v[132:133], v[62:63]
	v_fma_f64 v[138:139], v[90:91], s[36:37], v[154:155]
	v_fma_f64 v[140:141], v[110:111], s[36:37], -v[162:163]
	v_mul_f64 v[150:151], v[106:107], s[4:5]
	v_mul_f64 v[166:167], v[96:97], s[4:5]
	s_mov_b32 s35, 0xbfe5384d
	s_mov_b32 s34, s24
	v_add_f64 v[0:1], v[4:5], v[0:1]
	v_add_f64 v[2:3], v[6:7], v[2:3]
	v_fma_f64 v[4:5], v[108:109], s[30:31], v[126:127]
	v_fma_f64 v[6:7], v[124:125], s[30:31], -v[136:137]
	v_add_f64 v[122:123], v[56:57], v[52:53]
	v_mul_f64 v[134:135], v[128:129], s[40:41]
	v_add_f64 v[132:133], v[58:59], v[54:55]
	v_mul_f64 v[144:145], v[120:121], s[40:41]
	v_add_f64 v[60:61], v[138:139], v[60:61]
	v_add_f64 v[62:63], v[140:141], v[62:63]
	v_fma_f64 v[138:139], v[108:109], s[14:15], v[150:151]
	v_fma_f64 v[140:141], v[124:125], s[14:15], -v[166:167]
	v_mul_f64 v[156:157], v[128:129], s[34:35]
	v_mul_f64 v[168:169], v[120:121], s[34:35]
	v_add_f64 v[0:1], v[4:5], v[0:1]
	v_add_f64 v[2:3], v[6:7], v[2:3]
	v_fma_f64 v[4:5], v[122:123], s[36:37], v[134:135]
	v_fma_f64 v[6:7], v[132:133], s[36:37], -v[144:145]
	v_add_f64 v[60:61], v[138:139], v[60:61]
	v_add_f64 v[62:63], v[140:141], v[62:63]
	v_fma_f64 v[138:139], v[122:123], s[20:21], v[156:157]
	v_fma_f64 v[140:141], v[132:133], s[20:21], -v[168:169]
	s_movk_i32 s2, 0x84
	v_cmp_gt_u32_e64 s[2:3], s2, v64
	v_add_f64 v[4:5], v[4:5], v[0:1]
	v_add_f64 v[6:7], v[6:7], v[2:3]
	s_barrier
	v_add_f64 v[0:1], v[138:139], v[60:61]
	v_add_f64 v[2:3], v[140:141], v[62:63]
	s_and_saveexec_b64 s[26:27], s[2:3]
	s_cbranch_execz .LBB0_21
; %bb.20:
	v_mul_f64 v[60:61], v[100:101], s[18:19]
	s_mov_b32 s3, 0x3fcea1e5
	s_mov_b32 s2, s16
	v_mul_f64 v[62:63], v[104:105], s[36:37]
	v_mul_f64 v[171:172], v[70:71], s[16:17]
	s_mov_b32 s43, 0xbfddbe06
	s_mov_b32 s42, s40
	v_mul_f64 v[175:176], v[88:89], s[20:21]
	v_fma_f64 v[173:174], v[76:77], s[2:3], v[60:61]
	v_mul_f64 v[177:178], v[74:75], s[40:41]
	v_mul_f64 v[215:216], v[110:111], s[14:15]
	v_fma_f64 v[181:182], v[78:79], s[42:43], v[62:63]
	v_fma_f64 v[179:180], v[68:69], s[18:19], v[171:172]
	v_mul_f64 v[217:218], v[82:83], s[34:35]
	s_mov_b32 s45, 0x3fea55e2
	v_fma_f64 v[221:222], v[84:85], s[24:25], v[175:176]
	v_add_f64 v[173:174], v[22:23], v[173:174]
	v_fma_f64 v[219:220], v[72:73], s[36:37], v[177:178]
	s_mov_b32 s44, s4
	v_fma_f64 v[60:61], v[76:77], s[16:17], v[60:61]
	v_add_f64 v[179:180], v[20:21], v[179:180]
	v_fma_f64 v[223:224], v[80:81], s[20:21], v[217:218]
	v_fma_f64 v[225:226], v[94:95], s[4:5], v[215:216]
	;; [unrolled: 1-line block ×3, first 2 shown]
	v_add_f64 v[173:174], v[181:182], v[173:174]
	v_mul_f64 v[181:182], v[102:103], s[44:45]
	v_fma_f64 v[175:176], v[84:85], s[34:35], v[175:176]
	v_add_f64 v[60:61], v[22:23], v[60:61]
	v_add_f64 v[179:180], v[219:220], v[179:180]
	v_mul_f64 v[219:220], v[124:125], s[6:7]
	v_fma_f64 v[215:216], v[94:95], s[44:45], v[215:216]
	v_fma_f64 v[171:172], v[68:69], s[18:19], -v[171:172]
	v_add_f64 v[173:174], v[221:222], v[173:174]
	v_mul_f64 v[221:222], v[106:107], s[10:11]
	v_fma_f64 v[227:228], v[90:91], s[14:15], v[181:182]
	v_add_f64 v[60:61], v[62:63], v[60:61]
	v_add_f64 v[179:180], v[223:224], v[179:180]
	v_mul_f64 v[223:224], v[132:133], s[30:31]
	v_fma_f64 v[229:230], v[96:97], s[38:39], v[219:220]
	v_fma_f64 v[177:178], v[72:73], s[36:37], -v[177:178]
	v_add_f64 v[173:174], v[225:226], v[173:174]
	v_mul_f64 v[225:226], v[128:129], s[28:29]
	v_fma_f64 v[231:232], v[108:109], s[6:7], v[221:222]
	v_add_f64 v[60:61], v[175:176], v[60:61]
	v_add_f64 v[62:63], v[227:228], v[179:180]
	v_fma_f64 v[179:180], v[120:121], s[22:23], v[223:224]
	v_add_f64 v[171:172], v[20:21], v[171:172]
	v_mul_f64 v[237:238], v[74:75], s[28:29]
	v_add_f64 v[173:174], v[229:230], v[173:174]
	v_fma_f64 v[233:234], v[122:123], s[30:31], v[225:226]
	v_fma_f64 v[217:218], v[80:81], s[20:21], -v[217:218]
	v_add_f64 v[215:216], v[215:216], v[60:61]
	v_add_f64 v[175:176], v[231:232], v[62:63]
	v_mul_f64 v[245:246], v[82:83], s[4:5]
	v_add_f64 v[171:172], v[177:178], v[171:172]
	v_fma_f64 v[177:178], v[72:73], s[30:31], v[237:238]
	v_add_f64 v[62:63], v[179:180], v[173:174]
	v_mul_f64 v[173:174], v[100:101], s[20:21]
	v_fma_f64 v[179:180], v[96:97], s[10:11], v[219:220]
	v_mul_f64 v[219:220], v[70:71], s[34:35]
	v_add_f64 v[60:61], v[233:234], v[175:176]
	v_fma_f64 v[175:176], v[120:121], s[28:29], v[223:224]
	v_mul_f64 v[223:224], v[104:105], s[30:31]
	v_mul_f64 v[243:244], v[110:111], s[18:19]
	v_fma_f64 v[181:182], v[90:91], s[14:15], -v[181:182]
	v_fma_f64 v[233:234], v[76:77], s[24:25], v[173:174]
	v_add_f64 v[179:180], v[179:180], v[215:216]
	v_fma_f64 v[239:240], v[68:69], s[20:21], v[219:220]
	v_mul_f64 v[215:216], v[88:89], s[14:15]
	v_add_f64 v[171:172], v[217:218], v[171:172]
	v_fma_f64 v[241:242], v[78:79], s[22:23], v[223:224]
	v_fma_f64 v[249:250], v[80:81], s[14:15], v[245:246]
	v_mul_f64 v[217:218], v[124:125], s[36:37]
	v_add_f64 v[233:234], v[22:23], v[233:234]
	v_fma_f64 v[221:222], v[108:109], s[6:7], -v[221:222]
	v_add_f64 v[239:240], v[20:21], v[239:240]
	v_fma_f64 v[247:248], v[84:85], s[44:45], v[215:216]
	v_add_f64 v[171:172], v[181:182], v[171:172]
	v_mul_f64 v[181:182], v[132:133], s[6:7]
	v_fma_f64 v[225:226], v[122:123], s[30:31], -v[225:226]
	v_fma_f64 v[219:220], v[68:69], s[20:21], -v[219:220]
	v_add_f64 v[233:234], v[241:242], v[233:234]
	v_mul_f64 v[241:242], v[102:103], s[2:3]
	v_add_f64 v[177:178], v[177:178], v[239:240]
	v_fma_f64 v[239:240], v[94:95], s[16:17], v[243:244]
	v_add_f64 v[171:172], v[221:222], v[171:172]
	v_fma_f64 v[221:222], v[76:77], s[34:35], v[173:174]
	;; [unrolled: 2-line block ×3, first 2 shown]
	v_add_f64 v[233:234], v[247:248], v[233:234]
	v_mul_f64 v[247:248], v[106:107], s[40:41]
	v_fma_f64 v[251:252], v[90:91], s[18:19], v[241:242]
	v_add_f64 v[177:178], v[249:250], v[177:178]
	v_fma_f64 v[249:250], v[96:97], s[42:43], v[217:218]
	v_add_f64 v[179:180], v[22:23], v[221:222]
	v_add_f64 v[171:172], v[225:226], v[171:172]
	v_mul_f64 v[225:226], v[100:101], s[6:7]
	v_add_f64 v[233:234], v[239:240], v[233:234]
	v_mul_f64 v[239:240], v[128:129], s[10:11]
	v_fma_f64 v[253:254], v[108:109], s[36:37], v[247:248]
	v_add_f64 v[177:178], v[251:252], v[177:178]
	v_fma_f64 v[251:252], v[120:121], s[38:39], v[181:182]
	v_mul_f64 v[189:190], v[100:101], s[30:31]
	v_fma_f64 v[215:216], v[84:85], s[4:5], v[215:216]
	v_add_f64 v[179:180], v[175:176], v[179:180]
	v_add_f64 v[233:234], v[249:250], v[233:234]
	v_fma_f64 v[221:222], v[122:123], s[6:7], v[239:240]
	v_add_f64 v[219:220], v[20:21], v[219:220]
	v_add_f64 v[223:224], v[253:254], v[177:178]
	v_mul_f64 v[197:198], v[104:105], s[18:19]
	v_add_f64 v[160:161], v[160:161], v[189:190]
	v_mul_f64 v[203:204], v[88:89], s[6:7]
	v_add_f64 v[179:180], v[215:216], v[179:180]
	v_add_f64 v[177:178], v[251:252], v[233:234]
	v_fma_f64 v[233:234], v[72:73], s[30:31], -v[237:238]
	v_fma_f64 v[237:238], v[76:77], s[38:39], v[225:226]
	v_add_f64 v[175:176], v[221:222], v[223:224]
	v_mul_f64 v[223:224], v[104:105], s[20:21]
	v_fma_f64 v[221:222], v[94:95], s[2:3], v[243:244]
	v_fma_f64 v[215:216], v[80:81], s[14:15], -v[245:246]
	v_mul_f64 v[243:244], v[70:71], s[10:11]
	v_fma_f64 v[217:218], v[96:97], s[40:41], v[217:218]
	v_add_f64 v[219:220], v[233:234], v[219:220]
	v_mul_f64 v[233:234], v[88:89], s[36:37]
	v_add_f64 v[237:238], v[22:23], v[237:238]
	v_fma_f64 v[245:246], v[78:79], s[34:35], v[223:224]
	v_add_f64 v[179:180], v[221:222], v[179:180]
	v_add_f64 v[164:165], v[164:165], v[197:198]
	v_fma_f64 v[249:250], v[68:69], s[6:7], v[243:244]
	v_add_f64 v[160:161], v[22:23], v[160:161]
	v_add_f64 v[215:216], v[215:216], v[219:220]
	v_mul_f64 v[219:220], v[110:111], s[30:31]
	v_fma_f64 v[251:252], v[84:85], s[42:43], v[233:234]
	v_add_f64 v[237:238], v[245:246], v[237:238]
	v_mul_f64 v[209:210], v[110:111], s[36:37]
	v_add_f64 v[179:180], v[217:218], v[179:180]
	v_fma_f64 v[217:218], v[108:109], s[36:37], -v[247:248]
	v_add_f64 v[247:248], v[20:21], v[249:250]
	v_add_f64 v[158:159], v[158:159], v[203:204]
	v_fma_f64 v[249:250], v[94:95], s[28:29], v[219:220]
	v_add_f64 v[160:161], v[164:165], v[160:161]
	v_add_f64 v[237:238], v[251:252], v[237:238]
	v_mul_f64 v[251:252], v[124:125], s[18:19]
	v_mul_f64 v[227:228], v[124:125], s[14:15]
	v_add_f64 v[162:163], v[162:163], v[209:210]
	v_add_f64 v[18:19], v[22:23], v[18:19]
	;; [unrolled: 1-line block ×3, first 2 shown]
	v_mul_f64 v[185:186], v[100:101], s[14:15]
	v_add_f64 v[158:159], v[158:159], v[160:161]
	v_add_f64 v[237:238], v[249:250], v[237:238]
	v_fma_f64 v[249:250], v[96:97], s[16:17], v[251:252]
	v_add_f64 v[166:167], v[166:167], v[227:228]
	v_mul_f64 v[183:184], v[68:69], s[14:15]
	v_add_f64 v[18:19], v[18:19], v[30:31]
	v_add_f64 v[16:17], v[16:17], v[28:29]
	v_mul_f64 v[193:194], v[104:105], s[6:7]
	v_add_f64 v[158:159], v[162:163], v[158:159]
	v_mul_f64 v[191:192], v[72:73], s[6:7]
	;; [unrolled: 2-line block ×3, first 2 shown]
	v_mul_f64 v[199:200], v[88:89], s[18:19]
	v_add_f64 v[18:19], v[18:19], v[34:35]
	v_add_f64 v[16:17], v[16:17], v[32:33]
	;; [unrolled: 1-line block ×5, first 2 shown]
	v_add_f64 v[92:93], v[183:184], -v[92:93]
	v_add_f64 v[168:169], v[168:169], v[249:250]
	v_mul_f64 v[100:101], v[100:101], s[36:37]
	v_add_f64 v[18:19], v[18:19], v[42:43]
	v_add_f64 v[40:41], v[16:17], v[40:41]
	v_mul_f64 v[140:141], v[80:81], s[18:19]
	v_add_f64 v[118:119], v[118:119], v[199:200]
	v_add_f64 v[98:99], v[191:192], -v[98:99]
	v_add_f64 v[92:93], v[20:21], v[92:93]
	v_add_f64 v[114:115], v[168:169], v[158:159]
	;; [unrolled: 1-line block ×3, first 2 shown]
	v_mul_f64 v[104:105], v[104:105], s[14:15]
	v_add_f64 v[18:19], v[18:19], v[46:47]
	v_add_f64 v[40:41], v[40:41], v[44:45]
	v_mul_f64 v[138:139], v[90:91], s[20:21]
	v_add_f64 v[86:87], v[140:141], -v[86:87]
	v_add_f64 v[92:93], v[98:99], v[92:93]
	v_mul_f64 v[88:89], v[88:89], s[30:31]
	v_add_f64 v[116:117], v[116:117], v[158:159]
	v_fma_f64 v[158:159], v[76:77], s[40:41], v[100:101]
	v_fma_f64 v[98:99], v[78:79], s[44:45], v[104:105]
	v_mul_f64 v[44:45], v[70:71], s[42:43]
	v_mul_f64 v[187:188], v[68:69], s[30:31]
	v_add_f64 v[18:19], v[18:19], v[58:59]
	v_add_f64 v[40:41], v[40:41], v[56:57]
	v_mul_f64 v[205:206], v[110:111], s[20:21]
	v_add_f64 v[116:117], v[118:119], v[116:117]
	v_add_f64 v[118:119], v[22:23], v[158:159]
	v_fma_f64 v[221:222], v[90:91], s[18:19], -v[241:242]
	v_mul_f64 v[241:242], v[74:75], s[24:25]
	v_fma_f64 v[225:226], v[76:77], s[10:11], v[225:226]
	v_add_f64 v[30:31], v[138:139], -v[112:113]
	v_add_f64 v[86:87], v[86:87], v[92:93]
	v_mul_f64 v[92:93], v[110:111], s[6:7]
	v_fma_f64 v[110:111], v[84:85], s[28:29], v[88:89]
	v_add_f64 v[98:99], v[98:99], v[118:119]
	v_fma_f64 v[76:77], v[76:77], s[42:43], v[100:101]
	v_mul_f64 v[74:75], v[74:75], s[4:5]
	v_fma_f64 v[56:57], v[68:69], s[36:37], -v[44:45]
	v_mul_f64 v[195:196], v[72:73], s[18:19]
	v_add_f64 v[146:147], v[187:188], -v[146:147]
	v_fma_f64 v[243:244], v[68:69], s[6:7], -v[243:244]
	v_fma_f64 v[44:45], v[68:69], s[36:37], v[44:45]
	v_add_f64 v[18:19], v[18:19], v[54:55]
	v_add_f64 v[40:41], v[40:41], v[52:53]
	;; [unrolled: 1-line block ×4, first 2 shown]
	v_fma_f64 v[86:87], v[94:95], s[38:39], v[92:93]
	v_add_f64 v[98:99], v[110:111], v[98:99]
	v_mul_f64 v[58:59], v[82:83], s[22:23]
	v_fma_f64 v[68:69], v[78:79], s[4:5], v[104:105]
	v_add_f64 v[22:23], v[22:23], v[76:77]
	v_fma_f64 v[76:77], v[72:73], s[14:15], -v[74:75]
	v_add_f64 v[52:53], v[20:21], v[56:57]
	v_mul_f64 v[201:202], v[80:81], s[6:7]
	v_add_f64 v[148:149], v[195:196], -v[148:149]
	v_add_f64 v[146:147], v[20:21], v[146:147]
	v_add_f64 v[215:216], v[221:222], v[215:216]
	v_mul_f64 v[221:222], v[82:83], s[40:41]
	v_fma_f64 v[245:246], v[72:73], s[20:21], v[241:242]
	v_fma_f64 v[223:224], v[78:79], s[24:25], v[223:224]
	v_fma_f64 v[241:242], v[72:73], s[20:21], -v[241:242]
	v_add_f64 v[243:244], v[20:21], v[243:244]
	v_fma_f64 v[54:55], v[72:73], s[14:15], v[74:75]
	v_add_f64 v[20:21], v[20:21], v[44:45]
	v_add_f64 v[18:19], v[18:19], v[50:51]
	;; [unrolled: 1-line block ×3, first 2 shown]
	v_mul_f64 v[142:143], v[108:109], s[30:31]
	v_add_f64 v[86:87], v[86:87], v[98:99]
	v_mul_f64 v[98:99], v[102:103], s[10:11]
	v_fma_f64 v[44:45], v[84:85], s[22:23], v[88:89]
	v_add_f64 v[22:23], v[68:69], v[22:23]
	v_fma_f64 v[56:57], v[80:81], s[30:31], -v[58:59]
	v_add_f64 v[48:49], v[76:77], v[52:53]
	v_mul_f64 v[211:212], v[124:125], s[30:31]
	v_add_f64 v[130:131], v[130:131], v[205:206]
	v_mul_f64 v[207:208], v[90:91], s[36:37]
	v_add_f64 v[152:153], v[201:202], -v[152:153]
	v_add_f64 v[146:147], v[148:149], v[146:147]
	v_fma_f64 v[181:182], v[120:121], s[10:11], v[181:182]
	v_fma_f64 v[239:240], v[122:123], s[6:7], -v[239:240]
	v_add_f64 v[215:216], v[217:218], v[215:216]
	v_fma_f64 v[217:218], v[80:81], s[36:37], v[221:222]
	v_add_f64 v[245:246], v[245:246], v[247:248]
	v_mul_f64 v[247:248], v[102:103], s[22:23]
	v_add_f64 v[223:224], v[223:224], v[225:226]
	v_fma_f64 v[233:234], v[84:85], s[40:41], v[233:234]
	v_fma_f64 v[221:222], v[80:81], s[36:37], -v[221:222]
	v_add_f64 v[187:188], v[241:242], v[243:244]
	v_fma_f64 v[50:51], v[80:81], s[30:31], v[58:59]
	v_add_f64 v[20:21], v[54:55], v[20:21]
	v_add_f64 v[18:19], v[18:19], v[38:39]
	;; [unrolled: 1-line block ×3, first 2 shown]
	v_add_f64 v[32:33], v[142:143], -v[126:127]
	v_mul_f64 v[34:35], v[124:125], s[20:21]
	v_mul_f64 v[70:71], v[106:107], s[34:35]
	v_fma_f64 v[52:53], v[94:95], s[10:11], v[92:93]
	v_add_f64 v[22:23], v[44:45], v[22:23]
	v_fma_f64 v[44:45], v[90:91], s[6:7], -v[98:99]
	v_add_f64 v[38:39], v[56:57], v[48:49]
	v_mul_f64 v[231:232], v[132:133], s[36:37]
	v_add_f64 v[136:137], v[136:137], v[211:212]
	v_add_f64 v[28:29], v[130:131], v[116:117]
	v_mul_f64 v[213:214], v[108:109], s[14:15]
	v_add_f64 v[154:155], v[207:208], -v[154:155]
	v_add_f64 v[152:153], v[152:153], v[146:147]
	v_add_f64 v[181:182], v[181:182], v[179:180]
	;; [unrolled: 1-line block ×3, first 2 shown]
	v_mul_f64 v[239:240], v[106:107], s[2:3]
	v_fma_f64 v[164:165], v[94:95], s[22:23], v[219:220]
	v_add_f64 v[203:204], v[233:234], v[223:224]
	v_fma_f64 v[219:220], v[90:91], s[30:31], -v[247:248]
	v_add_f64 v[187:188], v[221:222], v[187:188]
	v_add_f64 v[217:218], v[217:218], v[245:246]
	v_fma_f64 v[245:246], v[90:91], s[30:31], v[247:248]
	v_fma_f64 v[40:41], v[90:91], s[6:7], v[98:99]
	v_add_f64 v[20:21], v[50:51], v[20:21]
	v_add_f64 v[18:19], v[18:19], v[26:27]
	v_add_f64 v[24:25], v[36:37], v[24:25]
	v_add_f64 v[30:31], v[32:33], v[30:31]
	v_mul_f64 v[32:33], v[132:133], s[18:19]
	v_fma_f64 v[42:43], v[96:97], s[24:25], v[34:35]
	v_mul_f64 v[46:47], v[128:129], s[16:17]
	v_fma_f64 v[34:35], v[96:97], s[34:35], v[34:35]
	v_add_f64 v[22:23], v[52:53], v[22:23]
	v_fma_f64 v[48:49], v[108:109], s[20:21], -v[70:71]
	v_add_f64 v[26:27], v[44:45], v[38:39]
	v_mul_f64 v[229:230], v[122:123], s[36:37]
	v_add_f64 v[144:145], v[144:145], v[231:232]
	v_add_f64 v[28:29], v[136:137], v[28:29]
	v_mul_f64 v[235:236], v[122:123], s[20:21]
	v_add_f64 v[185:186], v[213:214], -v[150:151]
	v_add_f64 v[154:155], v[154:155], v[152:153]
	v_mul_f64 v[215:216], v[132:133], s[14:15]
	v_mul_f64 v[189:190], v[128:129], s[44:45]
	v_fma_f64 v[160:161], v[96:97], s[2:3], v[251:252]
	v_add_f64 v[164:165], v[164:165], v[203:204]
	v_fma_f64 v[195:196], v[108:109], s[18:19], -v[239:240]
	v_add_f64 v[148:149], v[219:220], v[187:188]
	v_add_f64 v[217:218], v[245:246], v[217:218]
	v_fma_f64 v[245:246], v[108:109], s[18:19], v[239:240]
	v_fma_f64 v[36:37], v[108:109], s[20:21], v[70:71]
	v_add_f64 v[20:21], v[40:41], v[20:21]
	v_add_f64 v[14:15], v[18:19], v[14:15]
	;; [unrolled: 1-line block ×3, first 2 shown]
	v_fma_f64 v[38:39], v[120:121], s[16:17], v[32:33]
	v_add_f64 v[22:23], v[34:35], v[22:23]
	v_fma_f64 v[34:35], v[122:123], s[18:19], -v[46:47]
	v_add_f64 v[24:25], v[48:49], v[26:27]
	v_add_f64 v[16:17], v[144:145], v[28:29]
	v_add_f64 v[28:29], v[229:230], -v[134:135]
	v_add_f64 v[156:157], v[235:236], -v[156:157]
	v_add_f64 v[154:155], v[185:186], v[154:155]
	v_fma_f64 v[162:163], v[120:121], s[44:45], v[215:216]
	v_add_f64 v[160:161], v[160:161], v[164:165]
	v_fma_f64 v[164:165], v[122:123], s[14:15], -v[189:190]
	v_add_f64 v[187:188], v[195:196], v[148:149]
	v_fma_f64 v[225:226], v[120:121], s[4:5], v[215:216]
	v_fma_f64 v[197:198], v[122:123], s[14:15], v[189:190]
	v_add_f64 v[217:218], v[245:246], v[217:218]
	v_fma_f64 v[26:27], v[120:121], s[2:3], v[32:33]
	v_add_f64 v[32:33], v[42:43], v[86:87]
	;; [unrolled: 2-line block ×3, first 2 shown]
	v_add_f64 v[20:21], v[14:15], v[10:11]
	v_add_f64 v[18:19], v[18:19], v[8:9]
	;; [unrolled: 1-line block ×8, first 2 shown]
	s_movk_i32 s2, 0xc0
	v_mad_u32_u24 v8, v64, s2, v170
	v_add_f64 v[148:149], v[225:226], v[237:238]
	v_add_f64 v[146:147], v[197:198], v[217:218]
	;; [unrolled: 1-line block ×4, first 2 shown]
	ds_write_b128 v8, v[18:21]
	ds_write_b128 v8, v[10:13] offset:16
	ds_write_b128 v8, v[14:17] offset:32
	;; [unrolled: 1-line block ×12, first 2 shown]
.LBB0_21:
	s_or_b64 exec, exec, s[26:27]
	s_waitcnt lgkmcnt(0)
	s_barrier
	ds_read_b128 v[12:15], v170
	ds_read_b128 v[24:27], v170 offset:2496
	ds_read_b128 v[8:11], v170 offset:16224
	ds_read_b128 v[16:19], v170 offset:18720
	ds_read_b128 v[32:35], v170 offset:4992
	ds_read_b128 v[28:31], v170 offset:7488
	ds_read_b128 v[44:47], v170 offset:13728
	ds_read_b128 v[36:39], v170 offset:9984
	ds_read_b128 v[40:43], v170 offset:21216
	ds_read_b128 v[20:23], v170 offset:23712
	s_and_saveexec_b64 s[2:3], vcc
	s_cbranch_execz .LBB0_23
; %bb.22:
	ds_read_b128 v[0:3], v170 offset:12480
	ds_read_b128 v[4:7], v170 offset:26208
.LBB0_23:
	s_or_b64 exec, exec, s[2:3]
	s_movk_i32 s2, 0x4f
	v_add_u32_e32 v49, 0x138, v64
	v_mul_lo_u16_sdwa v51, v64, s2 dst_sel:DWORD dst_unused:UNUSED_PAD src0_sel:BYTE_0 src1_sel:DWORD
	s_movk_i32 s2, 0x4ec5
	v_mul_u32_u24_sdwa v59, v49, s2 dst_sel:DWORD dst_unused:UNUSED_PAD src0_sel:WORD_0 src1_sel:DWORD
	v_lshrrev_b32_e32 v84, 18, v59
	v_mul_lo_u16_e32 v59, 13, v84
	v_add_u32_e32 v50, 0x1d4, v64
	v_sub_u16_e32 v49, v49, v59
	v_lshlrev_b32_e32 v85, 4, v49
	v_mul_u32_u24_sdwa v49, v50, s2 dst_sel:DWORD dst_unused:UNUSED_PAD src0_sel:WORD_0 src1_sel:DWORD
	v_lshrrev_b32_e32 v86, 18, v49
	v_mul_lo_u16_e32 v49, 13, v86
	v_add_u32_e32 v63, 0x270, v64
	v_sub_u16_e32 v49, v50, v49
	v_lshlrev_b32_e32 v87, 4, v49
	v_mul_u32_u24_sdwa v49, v63, s2 dst_sel:DWORD dst_unused:UNUSED_PAD src0_sel:WORD_0 src1_sel:DWORD
	v_lshrrev_b32_e32 v88, 18, v49
	v_lshrrev_b16_e32 v80, 10, v51
	v_mul_lo_u16_e32 v49, 13, v88
	v_add_u32_e32 v65, 0x30c, v64
	v_mul_lo_u16_e32 v51, 13, v80
	v_sub_u16_e32 v49, v63, v49
	v_add_u32_e32 v48, 0x9c, v64
	v_sub_u16_e32 v51, v64, v51
	v_mov_b32_e32 v52, 4
	v_lshlrev_b32_e32 v63, 4, v49
	v_mul_u32_u24_sdwa v49, v65, s2 dst_sel:DWORD dst_unused:UNUSED_PAD src0_sel:WORD_0 src1_sel:DWORD
	v_lshlrev_b32_sdwa v81, v52, v51 dst_sel:DWORD dst_unused:UNUSED_PAD src0_sel:DWORD src1_sel:BYTE_0
	v_mul_u32_u24_sdwa v51, v48, s2 dst_sel:DWORD dst_unused:UNUSED_PAD src0_sel:WORD_0 src1_sel:DWORD
	v_lshrrev_b32_e32 v49, 18, v49
	v_lshrrev_b32_e32 v82, 18, v51
	v_mul_lo_u16_e32 v50, 13, v49
	v_mul_lo_u16_e32 v51, 13, v82
	v_sub_u16_e32 v50, v65, v50
	v_sub_u16_e32 v51, v48, v51
	v_lshlrev_b32_e32 v50, 4, v50
	v_lshlrev_b32_e32 v83, 4, v51
	global_load_dwordx4 v[51:54], v81, s[8:9]
	global_load_dwordx4 v[55:58], v83, s[8:9]
	;; [unrolled: 1-line block ×6, first 2 shown]
	v_mul_u32_u24_e32 v65, 0x1a0, v80
	v_mul_u32_u24_e32 v80, 0x1a0, v82
	;; [unrolled: 1-line block ×5, first 2 shown]
	v_add3_u32 v65, 0, v65, v81
	v_add3_u32 v92, 0, v80, v83
	v_add3_u32 v93, 0, v82, v85
	v_add3_u32 v94, 0, v84, v87
	v_add3_u32 v63, 0, v86, v63
	s_waitcnt vmcnt(0) lgkmcnt(0)
	s_barrier
	v_mul_f64 v[80:81], v[46:47], v[53:54]
	v_mul_f64 v[53:54], v[44:45], v[53:54]
	;; [unrolled: 1-line block ×12, first 2 shown]
	v_fma_f64 v[44:45], v[44:45], v[51:52], -v[80:81]
	v_fma_f64 v[46:47], v[46:47], v[51:52], v[53:54]
	v_fma_f64 v[8:9], v[8:9], v[55:56], -v[82:83]
	v_fma_f64 v[10:11], v[10:11], v[55:56], v[57:58]
	;; [unrolled: 2-line block ×6, first 2 shown]
	v_add_f64 v[40:41], v[12:13], -v[44:45]
	v_add_f64 v[42:43], v[14:15], -v[46:47]
	;; [unrolled: 1-line block ×12, first 2 shown]
	v_fma_f64 v[55:56], v[12:13], 2.0, -v[40:41]
	v_fma_f64 v[57:58], v[14:15], 2.0, -v[42:43]
	;; [unrolled: 1-line block ×12, first 2 shown]
	ds_write_b128 v65, v[40:43] offset:208
	ds_write_b128 v65, v[55:58]
	ds_write_b128 v92, v[24:27]
	ds_write_b128 v92, v[44:47] offset:208
	ds_write_b128 v93, v[32:35]
	ds_write_b128 v93, v[51:54] offset:208
	;; [unrolled: 2-line block ×4, first 2 shown]
	s_and_saveexec_b64 s[2:3], vcc
	s_cbranch_execz .LBB0_25
; %bb.24:
	v_mul_lo_u16_e32 v24, 26, v49
	v_lshlrev_b32_e32 v24, 4, v24
	v_add3_u32 v24, 0, v50, v24
	ds_write_b128 v24, v[0:3]
	ds_write_b128 v24, v[20:23] offset:208
.LBB0_25:
	s_or_b64 exec, exec, s[2:3]
	s_waitcnt lgkmcnt(0)
	s_barrier
	ds_read_b128 v[24:27], v170
	ds_read_b128 v[28:31], v170 offset:4576
	ds_read_b128 v[32:35], v170 offset:9152
	;; [unrolled: 1-line block ×5, first 2 shown]
	s_movk_i32 s2, 0x82
	v_cmp_gt_u32_e32 vcc, s2, v64
	s_and_saveexec_b64 s[2:3], vcc
	s_cbranch_execz .LBB0_27
; %bb.26:
	ds_read_b128 v[4:7], v170 offset:2496
	ds_read_b128 v[8:11], v170 offset:7072
	;; [unrolled: 1-line block ×6, first 2 shown]
.LBB0_27:
	s_or_b64 exec, exec, s[2:3]
	s_movk_i32 s2, 0x4f
	v_mul_lo_u16_sdwa v49, v64, s2 dst_sel:DWORD dst_unused:UNUSED_PAD src0_sel:BYTE_0 src1_sel:DWORD
	v_lshrrev_b16_e32 v61, 11, v49
	v_mul_lo_u16_e32 v49, 26, v61
	v_sub_u16_e32 v62, v64, v49
	v_mov_b32_e32 v49, 5
	v_mul_u32_u24_sdwa v49, v62, v49 dst_sel:DWORD dst_unused:UNUSED_PAD src0_sel:BYTE_0 src1_sel:DWORD
	v_lshlrev_b32_e32 v63, 4, v49
	global_load_dwordx4 v[49:52], v63, s[8:9] offset:208
	global_load_dwordx4 v[53:56], v63, s[8:9] offset:224
	;; [unrolled: 1-line block ×5, first 2 shown]
	v_mov_b32_e32 v63, 4
	v_mul_u32_u24_e32 v61, 0x9c0, v61
	v_lshlrev_b32_sdwa v62, v63, v62 dst_sel:DWORD dst_unused:UNUSED_PAD src0_sel:DWORD src1_sel:BYTE_0
	v_add3_u32 v63, 0, v61, v62
	s_mov_b32 s2, 0xe8584caa
	s_mov_b32 s3, 0x3febb67a
	;; [unrolled: 1-line block ×4, first 2 shown]
	s_waitcnt vmcnt(0) lgkmcnt(0)
	s_barrier
	v_mul_f64 v[61:62], v[30:31], v[51:52]
	v_mul_f64 v[51:52], v[28:29], v[51:52]
	;; [unrolled: 1-line block ×10, first 2 shown]
	v_fma_f64 v[40:41], v[40:41], v[57:58], -v[78:79]
	v_fma_f64 v[42:43], v[42:43], v[57:58], v[59:60]
	v_fma_f64 v[46:47], v[46:47], v[68:69], v[80:81]
	v_fma_f64 v[44:45], v[44:45], v[68:69], -v[70:71]
	v_fma_f64 v[28:29], v[28:29], v[49:50], -v[61:62]
	v_fma_f64 v[30:31], v[30:31], v[49:50], v[51:52]
	v_fma_f64 v[32:33], v[32:33], v[53:54], -v[76:77]
	v_fma_f64 v[34:35], v[34:35], v[53:54], v[55:56]
	v_fma_f64 v[36:37], v[36:37], v[72:73], -v[82:83]
	v_fma_f64 v[38:39], v[38:39], v[72:73], v[74:75]
	v_add_f64 v[49:50], v[42:43], v[46:47]
	v_add_f64 v[51:52], v[40:41], v[44:45]
	v_add_f64 v[61:62], v[42:43], -v[46:47]
	v_add_f64 v[68:69], v[40:41], -v[44:45]
	v_add_f64 v[53:54], v[24:25], v[32:33]
	v_add_f64 v[59:60], v[26:27], v[34:35]
	;; [unrolled: 1-line block ×3, first 2 shown]
	v_add_f64 v[57:58], v[34:35], -v[38:39]
	v_fma_f64 v[49:50], v[49:50], -0.5, v[30:31]
	v_fma_f64 v[51:52], v[51:52], -0.5, v[28:29]
	v_add_f64 v[34:35], v[34:35], v[38:39]
	v_add_f64 v[28:29], v[28:29], v[40:41]
	;; [unrolled: 1-line block ×3, first 2 shown]
	v_add_f64 v[32:33], v[32:33], -v[36:37]
	v_fma_f64 v[24:25], v[55:56], -0.5, v[24:25]
	v_add_f64 v[36:37], v[53:54], v[36:37]
	v_fma_f64 v[40:41], v[68:69], s[4:5], v[49:50]
	v_fma_f64 v[42:43], v[61:62], s[4:5], v[51:52]
	v_fma_f64 v[51:52], v[61:62], s[2:3], v[51:52]
	v_fma_f64 v[49:50], v[68:69], s[2:3], v[49:50]
	v_fma_f64 v[26:27], v[34:35], -0.5, v[26:27]
	v_add_f64 v[30:31], v[30:31], v[46:47]
	v_add_f64 v[28:29], v[28:29], v[44:45]
	;; [unrolled: 1-line block ×3, first 2 shown]
	v_mul_f64 v[34:35], v[40:41], s[2:3]
	v_mul_f64 v[44:45], v[42:43], -0.5
	v_mul_f64 v[46:47], v[51:52], s[4:5]
	v_mul_f64 v[53:54], v[49:50], -0.5
	v_fma_f64 v[55:56], v[57:58], s[2:3], v[24:25]
	v_fma_f64 v[59:60], v[32:33], s[4:5], v[26:27]
	;; [unrolled: 1-line block ×4, first 2 shown]
	v_fma_f64 v[51:52], v[51:52], 0.5, v[34:35]
	v_fma_f64 v[44:45], v[49:50], s[2:3], v[44:45]
	v_fma_f64 v[46:47], v[40:41], 0.5, v[46:47]
	v_fma_f64 v[49:50], v[42:43], s[4:5], v[53:54]
	v_add_f64 v[24:25], v[36:37], v[28:29]
	v_add_f64 v[26:27], v[38:39], v[30:31]
	v_add_f64 v[28:29], v[36:37], -v[28:29]
	v_add_f64 v[30:31], v[38:39], -v[30:31]
	v_add_f64 v[32:33], v[55:56], v[51:52]
	v_add_f64 v[36:37], v[57:58], v[44:45]
	;; [unrolled: 1-line block ×4, first 2 shown]
	v_add_f64 v[40:41], v[55:56], -v[51:52]
	v_add_f64 v[42:43], v[59:60], -v[46:47]
	;; [unrolled: 1-line block ×4, first 2 shown]
	ds_write_b128 v63, v[24:27]
	ds_write_b128 v63, v[28:31] offset:1248
	ds_write_b128 v63, v[32:35] offset:416
	;; [unrolled: 1-line block ×5, first 2 shown]
	s_and_saveexec_b64 s[6:7], vcc
	s_cbranch_execz .LBB0_29
; %bb.28:
	s_movk_i32 s10, 0x4ec5
	v_mul_u32_u24_sdwa v24, v48, s10 dst_sel:DWORD dst_unused:UNUSED_PAD src0_sel:WORD_0 src1_sel:DWORD
	v_lshrrev_b32_e32 v54, 19, v24
	v_mul_lo_u16_e32 v24, 26, v54
	v_sub_u16_e32 v55, v48, v24
	v_mul_u32_u24_e32 v24, 5, v55
	v_lshlrev_b32_e32 v44, 4, v24
	global_load_dwordx4 v[24:27], v44, s[8:9] offset:224
	global_load_dwordx4 v[28:31], v44, s[8:9] offset:256
	;; [unrolled: 1-line block ×5, first 2 shown]
	s_waitcnt vmcnt(4)
	v_mul_f64 v[44:45], v[14:15], v[26:27]
	v_mul_f64 v[26:27], v[12:13], v[26:27]
	s_waitcnt vmcnt(2)
	v_mul_f64 v[48:49], v[18:19], v[34:35]
	v_mul_f64 v[34:35], v[16:17], v[34:35]
	;; [unrolled: 3-line block ×3, first 2 shown]
	v_mul_f64 v[46:47], v[2:3], v[30:31]
	v_mul_f64 v[30:31], v[0:1], v[30:31]
	s_waitcnt vmcnt(0)
	v_mul_f64 v[52:53], v[10:11], v[42:43]
	v_mul_f64 v[42:43], v[8:9], v[42:43]
	v_fma_f64 v[16:17], v[16:17], v[32:33], -v[48:49]
	v_fma_f64 v[18:19], v[18:19], v[32:33], v[34:35]
	v_fma_f64 v[22:23], v[22:23], v[36:37], v[50:51]
	v_fma_f64 v[20:21], v[20:21], v[36:37], -v[38:39]
	v_fma_f64 v[12:13], v[12:13], v[24:25], -v[44:45]
	v_fma_f64 v[14:15], v[14:15], v[24:25], v[26:27]
	v_mul_lo_u16_e32 v24, 0x9c, v54
	v_fma_f64 v[2:3], v[2:3], v[28:29], v[30:31]
	v_lshlrev_b32_e32 v38, 4, v24
	v_fma_f64 v[8:9], v[8:9], v[40:41], -v[52:53]
	v_fma_f64 v[10:11], v[10:11], v[40:41], v[42:43]
	v_add_f64 v[24:25], v[18:19], v[22:23]
	v_add_f64 v[26:27], v[16:17], v[20:21]
	v_fma_f64 v[0:1], v[0:1], v[28:29], -v[46:47]
	v_add_f64 v[32:33], v[18:19], -v[22:23]
	v_add_f64 v[30:31], v[14:15], v[2:3]
	v_add_f64 v[34:35], v[16:17], -v[20:21]
	v_add_f64 v[36:37], v[6:7], v[14:15]
	v_add_f64 v[18:19], v[10:11], v[18:19]
	v_fma_f64 v[10:11], v[24:25], -0.5, v[10:11]
	v_fma_f64 v[24:25], v[26:27], -0.5, v[8:9]
	v_add_f64 v[28:29], v[12:13], -v[0:1]
	v_add_f64 v[26:27], v[12:13], v[0:1]
	v_add_f64 v[12:13], v[4:5], v[12:13]
	v_add_f64 v[8:9], v[8:9], v[16:17]
	v_fma_f64 v[6:7], v[30:31], -0.5, v[6:7]
	v_add_f64 v[16:17], v[36:37], v[2:3]
	v_fma_f64 v[30:31], v[34:35], s[2:3], v[10:11]
	v_fma_f64 v[36:37], v[32:33], s[2:3], v[24:25]
	;; [unrolled: 1-line block ×3, first 2 shown]
	v_add_f64 v[18:19], v[18:19], v[22:23]
	v_fma_f64 v[22:23], v[32:33], s[4:5], v[24:25]
	v_add_f64 v[14:15], v[14:15], -v[2:3]
	v_fma_f64 v[4:5], v[26:27], -0.5, v[4:5]
	v_add_f64 v[12:13], v[12:13], v[0:1]
	v_add_f64 v[8:9], v[8:9], v[20:21]
	v_mul_f64 v[0:1], v[30:31], -0.5
	v_mul_f64 v[20:21], v[36:37], s[4:5]
	v_fma_f64 v[24:25], v[28:29], s[2:3], v[6:7]
	v_fma_f64 v[26:27], v[28:29], s[4:5], v[6:7]
	v_mul_f64 v[6:7], v[10:11], s[2:3]
	v_mul_f64 v[28:29], v[22:23], -0.5
	v_fma_f64 v[34:35], v[14:15], s[2:3], v[4:5]
	v_fma_f64 v[32:33], v[14:15], s[4:5], v[4:5]
	;; [unrolled: 1-line block ×3, first 2 shown]
	v_fma_f64 v[20:21], v[10:11], 0.5, v[20:21]
	v_add_f64 v[4:5], v[12:13], v[8:9]
	v_add_f64 v[2:3], v[16:17], -v[18:19]
	v_fma_f64 v[36:37], v[36:37], 0.5, v[6:7]
	v_fma_f64 v[28:29], v[30:31], s[2:3], v[28:29]
	v_add_f64 v[6:7], v[16:17], v[18:19]
	v_add_f64 v[0:1], v[12:13], -v[8:9]
	v_add_f64 v[10:11], v[24:25], -v[22:23]
	;; [unrolled: 1-line block ×3, first 2 shown]
	v_add_f64 v[18:19], v[24:25], v[22:23]
	v_add_f64 v[22:23], v[26:27], v[20:21]
	;; [unrolled: 1-line block ×4, first 2 shown]
	v_add_f64 v[12:13], v[34:35], -v[36:37]
	v_add_f64 v[8:9], v[32:33], -v[28:29]
	v_lshlrev_b32_e32 v24, 4, v55
	v_add3_u32 v24, 0, v24, v38
	ds_write_b128 v24, v[4:7]
	ds_write_b128 v24, v[0:3] offset:1248
	ds_write_b128 v24, v[20:23] offset:416
	;; [unrolled: 1-line block ×5, first 2 shown]
.LBB0_29:
	s_or_b64 exec, exec, s[6:7]
	v_mul_u32_u24_e32 v0, 10, v64
	v_lshlrev_b32_e32 v40, 4, v0
	s_waitcnt lgkmcnt(0)
	s_barrier
	global_load_dwordx4 v[0:3], v40, s[8:9] offset:2288
	global_load_dwordx4 v[4:7], v40, s[8:9] offset:2304
	;; [unrolled: 1-line block ×10, first 2 shown]
	ds_read_b128 v[40:43], v170
	ds_read_b128 v[44:47], v170 offset:2496
	ds_read_b128 v[48:51], v170 offset:4992
	ds_read_b128 v[52:55], v170 offset:7488
	ds_read_b128 v[56:59], v170 offset:9984
	ds_read_b128 v[60:63], v170 offset:12480
	ds_read_b128 v[68:71], v170 offset:14976
	ds_read_b128 v[72:75], v170 offset:17472
	ds_read_b128 v[76:79], v170 offset:19968
	ds_read_b128 v[80:83], v170 offset:22464
	ds_read_b128 v[84:87], v170 offset:24960
	s_mov_b32 s20, 0xf8bb580b
	s_mov_b32 s6, 0x43842ef
	;; [unrolled: 1-line block ×26, first 2 shown]
	s_waitcnt vmcnt(0) lgkmcnt(0)
	s_barrier
	v_mul_f64 v[88:89], v[46:47], v[2:3]
	v_mul_f64 v[2:3], v[44:45], v[2:3]
	;; [unrolled: 1-line block ×20, first 2 shown]
	v_fma_f64 v[44:45], v[44:45], v[0:1], -v[88:89]
	v_fma_f64 v[0:1], v[46:47], v[0:1], v[2:3]
	v_fma_f64 v[2:3], v[48:49], v[4:5], -v[90:91]
	v_fma_f64 v[4:5], v[50:51], v[4:5], v[6:7]
	v_fma_f64 v[6:7], v[52:53], v[8:9], -v[92:93]
	v_fma_f64 v[8:9], v[54:55], v[8:9], v[10:11]
	v_fma_f64 v[10:11], v[56:57], v[12:13], -v[94:95]
	v_fma_f64 v[12:13], v[58:59], v[12:13], v[14:15]
	v_fma_f64 v[14:15], v[60:61], v[16:17], -v[96:97]
	v_fma_f64 v[16:17], v[62:63], v[16:17], v[18:19]
	v_fma_f64 v[18:19], v[68:69], v[20:21], -v[98:99]
	v_fma_f64 v[20:21], v[70:71], v[20:21], v[22:23]
	v_fma_f64 v[22:23], v[72:73], v[24:25], -v[100:101]
	v_fma_f64 v[24:25], v[74:75], v[24:25], v[26:27]
	v_fma_f64 v[26:27], v[84:85], v[36:37], -v[106:107]
	v_fma_f64 v[36:37], v[86:87], v[36:37], v[38:39]
	v_fma_f64 v[38:39], v[76:77], v[28:29], -v[102:103]
	v_fma_f64 v[28:29], v[78:79], v[28:29], v[30:31]
	v_fma_f64 v[30:31], v[80:81], v[32:33], -v[104:105]
	v_fma_f64 v[32:33], v[82:83], v[32:33], v[34:35]
	v_add_f64 v[34:35], v[40:41], v[44:45]
	v_add_f64 v[46:47], v[42:43], v[0:1]
	;; [unrolled: 1-line block ×4, first 2 shown]
	v_add_f64 v[0:1], v[0:1], -v[36:37]
	v_add_f64 v[44:45], v[44:45], -v[26:27]
	v_add_f64 v[52:53], v[2:3], v[30:31]
	v_add_f64 v[56:57], v[2:3], -v[30:31]
	v_add_f64 v[2:3], v[34:35], v[2:3]
	v_add_f64 v[54:55], v[4:5], v[32:33]
	v_add_f64 v[58:59], v[4:5], -v[32:33]
	v_add_f64 v[4:5], v[46:47], v[4:5]
	v_mul_f64 v[34:35], v[0:1], s[20:21]
	v_mul_f64 v[60:61], v[0:1], s[8:9]
	;; [unrolled: 1-line block ×4, first 2 shown]
	v_add_f64 v[2:3], v[2:3], v[6:7]
	v_mul_f64 v[0:1], v[0:1], s[22:23]
	v_mul_f64 v[46:47], v[44:45], s[20:21]
	v_add_f64 v[4:5], v[4:5], v[8:9]
	v_fma_f64 v[84:85], v[48:49], s[10:11], -v[34:35]
	v_fma_f64 v[34:35], v[48:49], s[10:11], v[34:35]
	v_fma_f64 v[88:89], v[48:49], s[2:3], -v[60:61]
	v_fma_f64 v[60:61], v[48:49], s[2:3], v[60:61]
	v_add_f64 v[2:3], v[2:3], v[10:11]
	v_fma_f64 v[92:93], v[48:49], s[4:5], -v[68:69]
	v_fma_f64 v[68:69], v[48:49], s[4:5], v[68:69]
	v_add_f64 v[4:5], v[4:5], v[12:13]
	v_fma_f64 v[96:97], v[48:49], s[14:15], -v[72:73]
	v_fma_f64 v[72:73], v[48:49], s[14:15], v[72:73]
	v_fma_f64 v[100:101], v[48:49], s[18:19], -v[0:1]
	v_fma_f64 v[48:49], v[48:49], s[18:19], v[0:1]
	v_add_f64 v[2:3], v[2:3], v[14:15]
	v_mul_f64 v[62:63], v[44:45], s[8:9]
	v_mul_f64 v[70:71], v[44:45], s[6:7]
	v_add_f64 v[4:5], v[4:5], v[16:17]
	v_mul_f64 v[74:75], v[44:45], s[16:17]
	v_mul_f64 v[44:45], v[44:45], s[22:23]
	;; [unrolled: 1-line block ×3, first 2 shown]
	v_fma_f64 v[86:87], v[50:51], s[10:11], v[46:47]
	v_add_f64 v[0:1], v[2:3], v[18:19]
	v_mul_f64 v[76:77], v[58:59], s[8:9]
	v_mul_f64 v[80:81], v[58:59], s[16:17]
	v_add_f64 v[2:3], v[4:5], v[20:21]
	v_fma_f64 v[46:47], v[50:51], s[10:11], -v[46:47]
	v_fma_f64 v[90:91], v[50:51], s[2:3], v[62:63]
	v_fma_f64 v[62:63], v[50:51], s[2:3], -v[62:63]
	v_fma_f64 v[94:95], v[50:51], s[4:5], v[70:71]
	v_add_f64 v[0:1], v[0:1], v[22:23]
	v_fma_f64 v[70:71], v[50:51], s[4:5], -v[70:71]
	v_fma_f64 v[98:99], v[50:51], s[14:15], v[74:75]
	v_add_f64 v[2:3], v[2:3], v[24:25]
	v_fma_f64 v[74:75], v[50:51], s[14:15], -v[74:75]
	v_fma_f64 v[102:103], v[50:51], s[18:19], v[44:45]
	v_fma_f64 v[4:5], v[50:51], s[18:19], -v[44:45]
	v_fma_f64 v[50:51], v[54:55], s[2:3], v[78:79]
	v_add_f64 v[0:1], v[0:1], v[38:39]
	v_add_f64 v[86:87], v[42:43], v[86:87]
	v_mul_f64 v[82:83], v[56:57], s[16:17]
	v_add_f64 v[2:3], v[2:3], v[28:29]
	v_fma_f64 v[44:45], v[52:53], s[2:3], -v[76:77]
	v_fma_f64 v[76:77], v[52:53], s[2:3], v[76:77]
	v_fma_f64 v[78:79], v[54:55], s[2:3], -v[78:79]
	v_fma_f64 v[104:105], v[52:53], s[14:15], -v[80:81]
	v_add_f64 v[0:1], v[0:1], v[30:31]
	v_add_f64 v[84:85], v[40:41], v[84:85]
	;; [unrolled: 1-line block ×15, first 2 shown]
	v_mul_f64 v[48:49], v[58:59], s[28:29]
	v_mul_f64 v[50:51], v[56:57], s[28:29]
	v_add_f64 v[90:91], v[42:43], v[90:91]
	v_add_f64 v[62:63], v[42:43], v[62:63]
	;; [unrolled: 1-line block ×13, first 2 shown]
	v_fma_f64 v[46:47], v[54:55], s[14:15], v[82:83]
	v_mul_f64 v[76:77], v[58:59], s[26:27]
	v_fma_f64 v[78:79], v[52:53], s[14:15], v[80:81]
	v_fma_f64 v[80:81], v[54:55], s[14:15], -v[82:83]
	v_fma_f64 v[82:83], v[52:53], s[18:19], -v[48:49]
	v_fma_f64 v[84:85], v[54:55], s[18:19], v[50:51]
	v_fma_f64 v[48:49], v[52:53], s[18:19], v[48:49]
	v_fma_f64 v[50:51], v[54:55], s[18:19], -v[50:51]
	v_mul_f64 v[88:89], v[56:57], s[26:27]
	v_mul_f64 v[58:59], v[58:59], s[24:25]
	;; [unrolled: 1-line block ×3, first 2 shown]
	v_fma_f64 v[86:87], v[52:53], s[4:5], -v[76:77]
	v_add_f64 v[60:61], v[78:79], v[60:61]
	v_add_f64 v[62:63], v[80:81], v[62:63]
	;; [unrolled: 1-line block ×4, first 2 shown]
	v_fma_f64 v[68:69], v[54:55], s[4:5], v[88:89]
	v_fma_f64 v[70:71], v[52:53], s[4:5], v[76:77]
	v_add_f64 v[78:79], v[82:83], v[92:93]
	v_add_f64 v[80:81], v[84:85], v[94:95]
	v_add_f64 v[76:77], v[8:9], -v[28:29]
	v_fma_f64 v[82:83], v[54:55], s[4:5], -v[88:89]
	v_fma_f64 v[84:85], v[54:55], s[10:11], v[56:57]
	v_add_f64 v[8:9], v[8:9], v[28:29]
	v_add_f64 v[32:33], v[68:69], v[32:33]
	v_add_f64 v[68:69], v[6:7], -v[38:39]
	v_add_f64 v[70:71], v[70:71], v[72:73]
	v_fma_f64 v[72:73], v[52:53], s[10:11], -v[58:59]
	v_add_f64 v[6:7], v[6:7], v[38:39]
	v_mul_f64 v[38:39], v[76:77], s[6:7]
	v_add_f64 v[74:75], v[82:83], v[74:75]
	v_fma_f64 v[52:53], v[52:53], s[10:11], v[58:59]
	v_fma_f64 v[54:55], v[54:55], s[10:11], -v[56:57]
	v_mul_f64 v[28:29], v[68:69], s[6:7]
	v_mul_f64 v[82:83], v[76:77], s[28:29]
	v_add_f64 v[58:59], v[72:73], v[96:97]
	v_add_f64 v[72:73], v[84:85], v[98:99]
	v_mul_f64 v[84:85], v[68:69], s[28:29]
	v_add_f64 v[46:47], v[46:47], v[90:91]
	v_add_f64 v[30:31], v[86:87], v[30:31]
	v_fma_f64 v[56:57], v[6:7], s[4:5], -v[38:39]
	v_fma_f64 v[86:87], v[8:9], s[4:5], v[28:29]
	v_add_f64 v[26:27], v[52:53], v[26:27]
	v_add_f64 v[4:5], v[54:55], v[4:5]
	v_fma_f64 v[38:39], v[6:7], s[4:5], v[38:39]
	v_fma_f64 v[28:29], v[8:9], s[4:5], -v[28:29]
	v_fma_f64 v[52:53], v[6:7], s[18:19], -v[82:83]
	v_fma_f64 v[54:55], v[8:9], s[18:19], v[84:85]
	s_mov_b32 s9, 0x3fed1bb4
	v_add_f64 v[36:37], v[56:57], v[36:37]
	v_mul_f64 v[56:57], v[76:77], s[8:9]
	v_add_f64 v[40:41], v[86:87], v[40:41]
	v_add_f64 v[34:35], v[38:39], v[34:35]
	;; [unrolled: 1-line block ×5, first 2 shown]
	v_fma_f64 v[44:45], v[6:7], s[18:19], v[82:83]
	v_fma_f64 v[46:47], v[8:9], s[18:19], -v[84:85]
	v_mul_f64 v[82:83], v[76:77], s[20:21]
	v_mul_f64 v[84:85], v[68:69], s[20:21]
	v_fma_f64 v[52:53], v[6:7], s[2:3], -v[56:57]
	v_fma_f64 v[56:57], v[6:7], s[2:3], v[56:57]
	v_mul_f64 v[86:87], v[68:69], s[8:9]
	v_mul_f64 v[68:69], v[68:69], s[16:17]
	v_add_f64 v[44:45], v[44:45], v[60:61]
	v_add_f64 v[46:47], v[46:47], v[62:63]
	v_fma_f64 v[60:61], v[6:7], s[10:11], -v[82:83]
	v_fma_f64 v[62:63], v[8:9], s[10:11], v[84:85]
	v_add_f64 v[52:53], v[52:53], v[78:79]
	v_add_f64 v[48:49], v[56:57], v[48:49]
	v_mul_f64 v[56:57], v[76:77], s[16:17]
	v_fma_f64 v[76:77], v[6:7], s[10:11], v[82:83]
	v_fma_f64 v[78:79], v[8:9], s[10:11], -v[84:85]
	v_fma_f64 v[54:55], v[8:9], s[2:3], v[86:87]
	v_add_f64 v[30:31], v[60:61], v[30:31]
	v_add_f64 v[32:33], v[62:63], v[32:33]
	v_add_f64 v[60:61], v[12:13], -v[24:25]
	v_add_f64 v[62:63], v[10:11], -v[22:23]
	v_add_f64 v[10:11], v[10:11], v[22:23]
	v_add_f64 v[12:13], v[12:13], v[24:25]
	;; [unrolled: 1-line block ×4, first 2 shown]
	v_fma_f64 v[86:87], v[8:9], s[2:3], -v[86:87]
	v_add_f64 v[54:55], v[54:55], v[80:81]
	v_mul_f64 v[22:23], v[60:61], s[16:17]
	v_mul_f64 v[24:25], v[62:63], s[16:17]
	v_fma_f64 v[80:81], v[6:7], s[14:15], -v[56:57]
	v_fma_f64 v[82:83], v[8:9], s[14:15], v[68:69]
	v_fma_f64 v[6:7], v[6:7], s[14:15], v[56:57]
	v_fma_f64 v[8:9], v[8:9], s[14:15], -v[68:69]
	v_mul_f64 v[56:57], v[60:61], s[26:27]
	v_add_f64 v[50:51], v[86:87], v[50:51]
	v_fma_f64 v[76:77], v[10:11], s[14:15], -v[22:23]
	v_fma_f64 v[78:79], v[12:13], s[14:15], v[24:25]
	v_fma_f64 v[22:23], v[10:11], s[14:15], v[22:23]
	v_fma_f64 v[24:25], v[12:13], s[14:15], -v[24:25]
	v_mul_f64 v[68:69], v[62:63], s[26:27]
	v_add_f64 v[4:5], v[8:9], v[4:5]
	v_fma_f64 v[8:9], v[10:11], s[4:5], -v[56:57]
	v_fma_f64 v[56:57], v[10:11], s[4:5], v[56:57]
	v_add_f64 v[36:37], v[76:77], v[36:37]
	v_add_f64 v[40:41], v[78:79], v[40:41]
	;; [unrolled: 1-line block ×4, first 2 shown]
	v_mul_f64 v[28:29], v[60:61], s[20:21]
	v_mul_f64 v[34:35], v[62:63], s[20:21]
	v_add_f64 v[6:7], v[6:7], v[26:27]
	v_fma_f64 v[26:27], v[12:13], s[4:5], v[68:69]
	v_add_f64 v[38:39], v[8:9], v[38:39]
	v_mul_f64 v[8:9], v[60:61], s[22:23]
	v_fma_f64 v[68:69], v[12:13], s[4:5], -v[68:69]
	v_add_f64 v[44:45], v[56:57], v[44:45]
	v_fma_f64 v[76:77], v[10:11], s[10:11], -v[28:29]
	v_fma_f64 v[78:79], v[12:13], s[10:11], v[34:35]
	v_fma_f64 v[28:29], v[10:11], s[10:11], v[28:29]
	v_fma_f64 v[34:35], v[12:13], s[10:11], -v[34:35]
	v_mul_f64 v[56:57], v[60:61], s[8:9]
	v_mul_f64 v[60:61], v[62:63], s[8:9]
	v_add_f64 v[58:59], v[80:81], v[58:59]
	v_add_f64 v[72:73], v[82:83], v[72:73]
	;; [unrolled: 1-line block ×3, first 2 shown]
	v_mul_f64 v[42:43], v[62:63], s[22:23]
	v_add_f64 v[28:29], v[28:29], v[48:49]
	v_add_f64 v[34:35], v[34:35], v[50:51]
	v_add_f64 v[48:49], v[16:17], -v[20:21]
	v_add_f64 v[50:51], v[14:15], -v[18:19]
	v_fma_f64 v[80:81], v[10:11], s[18:19], -v[8:9]
	v_add_f64 v[46:47], v[68:69], v[46:47]
	v_fma_f64 v[8:9], v[10:11], s[18:19], v[8:9]
	v_add_f64 v[62:63], v[14:15], v[18:19]
	v_add_f64 v[68:69], v[16:17], v[20:21]
	v_fma_f64 v[18:19], v[10:11], s[2:3], -v[56:57]
	v_mul_f64 v[14:15], v[48:49], s[22:23]
	v_mul_f64 v[16:17], v[50:51], s[22:23]
	v_fma_f64 v[20:21], v[12:13], s[2:3], v[60:61]
	v_fma_f64 v[82:83], v[12:13], s[18:19], v[42:43]
	v_fma_f64 v[42:43], v[12:13], s[18:19], -v[42:43]
	v_add_f64 v[70:71], v[8:9], v[70:71]
	v_fma_f64 v[8:9], v[10:11], s[2:3], v[56:57]
	v_fma_f64 v[10:11], v[12:13], s[2:3], -v[60:61]
	v_fma_f64 v[12:13], v[62:63], s[18:19], -v[14:15]
	v_fma_f64 v[56:57], v[68:69], s[18:19], v[16:17]
	v_add_f64 v[58:59], v[18:19], v[58:59]
	v_add_f64 v[60:61], v[20:21], v[72:73]
	v_mul_f64 v[18:19], v[48:49], s[24:25]
	v_mul_f64 v[20:21], v[50:51], s[24:25]
	v_add_f64 v[42:43], v[42:43], v[74:75]
	v_add_f64 v[72:73], v[8:9], v[6:7]
	;; [unrolled: 1-line block ×5, first 2 shown]
	v_fma_f64 v[8:9], v[62:63], s[18:19], v[14:15]
	v_fma_f64 v[10:11], v[68:69], s[18:19], -v[16:17]
	v_fma_f64 v[12:13], v[62:63], s[10:11], -v[18:19]
	v_fma_f64 v[14:15], v[68:69], s[10:11], v[20:21]
	v_mul_f64 v[36:37], v[48:49], s[16:17]
	v_mul_f64 v[40:41], v[50:51], s[16:17]
	v_fma_f64 v[16:17], v[62:63], s[10:11], v[18:19]
	v_fma_f64 v[18:19], v[68:69], s[10:11], -v[20:21]
	v_add_f64 v[8:9], v[8:9], v[22:23]
	v_add_f64 v[10:11], v[10:11], v[24:25]
	;; [unrolled: 1-line block ×4, first 2 shown]
	v_fma_f64 v[20:21], v[62:63], s[14:15], -v[36:37]
	v_fma_f64 v[24:25], v[62:63], s[14:15], v[36:37]
	v_fma_f64 v[26:27], v[68:69], s[14:15], -v[40:41]
	v_mul_f64 v[36:37], v[48:49], s[8:9]
	v_mul_f64 v[38:39], v[50:51], s[8:9]
	v_fma_f64 v[22:23], v[68:69], s[14:15], v[40:41]
	v_add_f64 v[16:17], v[16:17], v[44:45]
	v_mul_f64 v[40:41], v[48:49], s[6:7]
	v_mul_f64 v[44:45], v[50:51], s[6:7]
	v_add_f64 v[52:53], v[76:77], v[52:53]
	v_add_f64 v[54:55], v[78:79], v[54:55]
	;; [unrolled: 1-line block ×6, first 2 shown]
	v_fma_f64 v[28:29], v[62:63], s[2:3], -v[36:37]
	v_fma_f64 v[34:35], v[68:69], s[2:3], v[38:39]
	v_add_f64 v[18:19], v[18:19], v[46:47]
	v_fma_f64 v[36:37], v[62:63], s[2:3], v[36:37]
	v_fma_f64 v[38:39], v[68:69], s[2:3], -v[38:39]
	v_fma_f64 v[46:47], v[62:63], s[4:5], -v[40:41]
	v_fma_f64 v[48:49], v[68:69], s[4:5], v[44:45]
	v_fma_f64 v[40:41], v[62:63], s[4:5], v[40:41]
	v_fma_f64 v[44:45], v[68:69], s[4:5], -v[44:45]
	v_add_f64 v[20:21], v[20:21], v[52:53]
	v_add_f64 v[22:23], v[22:23], v[54:55]
	;; [unrolled: 1-line block ×10, first 2 shown]
	ds_write_b128 v170, v[0:3]
	ds_write_b128 v170, v[4:7] offset:2496
	ds_write_b128 v170, v[12:15] offset:4992
	ds_write_b128 v170, v[20:23] offset:7488
	ds_write_b128 v170, v[28:31] offset:9984
	ds_write_b128 v170, v[36:39] offset:12480
	ds_write_b128 v170, v[40:43] offset:14976
	ds_write_b128 v170, v[32:35] offset:17472
	ds_write_b128 v170, v[24:27] offset:19968
	ds_write_b128 v170, v[16:19] offset:22464
	ds_write_b128 v170, v[8:11] offset:24960
	s_waitcnt lgkmcnt(0)
	s_barrier
	s_and_saveexec_b64 s[2:3], s[0:1]
	s_cbranch_execz .LBB0_31
; %bb.30:
	v_lshl_add_u32 v10, v64, 4, 0
	v_mov_b32_e32 v65, 0
	ds_read_b128 v[0:3], v10
	v_mov_b32_e32 v4, s13
	v_add_co_u32_e32 v11, vcc, s12, v66
	v_addc_co_u32_e32 v12, vcc, v4, v67, vcc
	v_lshlrev_b64 v[4:5], 4, v[64:65]
	v_add_co_u32_e32 v8, vcc, v11, v4
	v_addc_co_u32_e32 v9, vcc, v12, v5, vcc
	ds_read_b128 v[4:7], v10 offset:2496
	s_waitcnt lgkmcnt(1)
	global_store_dwordx4 v[8:9], v[0:3], off
	s_nop 0
	v_add_u32_e32 v0, 0x9c, v64
	v_mov_b32_e32 v1, v65
	v_lshlrev_b64 v[0:1], 4, v[0:1]
	v_add_co_u32_e32 v0, vcc, v11, v0
	v_addc_co_u32_e32 v1, vcc, v12, v1, vcc
	s_waitcnt lgkmcnt(0)
	global_store_dwordx4 v[0:1], v[4:7], off
	ds_read_b128 v[0:3], v10 offset:4992
	v_add_u32_e32 v4, 0x138, v64
	v_mov_b32_e32 v5, v65
	v_lshlrev_b64 v[4:5], 4, v[4:5]
	v_add_co_u32_e32 v8, vcc, v11, v4
	v_addc_co_u32_e32 v9, vcc, v12, v5, vcc
	ds_read_b128 v[4:7], v10 offset:7488
	s_waitcnt lgkmcnt(1)
	global_store_dwordx4 v[8:9], v[0:3], off
	s_nop 0
	v_add_u32_e32 v0, 0x1d4, v64
	v_mov_b32_e32 v1, v65
	v_lshlrev_b64 v[0:1], 4, v[0:1]
	v_add_co_u32_e32 v0, vcc, v11, v0
	v_addc_co_u32_e32 v1, vcc, v12, v1, vcc
	s_waitcnt lgkmcnt(0)
	global_store_dwordx4 v[0:1], v[4:7], off
	ds_read_b128 v[0:3], v10 offset:9984
	v_add_u32_e32 v4, 0x270, v64
	v_mov_b32_e32 v5, v65
	;; [unrolled: 17-line block ×4, first 2 shown]
	v_lshlrev_b64 v[4:5], 4, v[4:5]
	v_add_co_u32_e32 v8, vcc, v11, v4
	v_addc_co_u32_e32 v9, vcc, v12, v5, vcc
	ds_read_b128 v[4:7], v10 offset:22464
	s_waitcnt lgkmcnt(1)
	global_store_dwordx4 v[8:9], v[0:3], off
	s_nop 0
	v_add_u32_e32 v0, 0x57c, v64
	v_mov_b32_e32 v1, v65
	v_lshlrev_b64 v[0:1], 4, v[0:1]
	v_add_u32_e32 v64, 0x618, v64
	v_add_co_u32_e32 v0, vcc, v11, v0
	v_addc_co_u32_e32 v1, vcc, v12, v1, vcc
	s_waitcnt lgkmcnt(0)
	global_store_dwordx4 v[0:1], v[4:7], off
	ds_read_b128 v[0:3], v10 offset:24960
	v_lshlrev_b64 v[4:5], 4, v[64:65]
	v_add_co_u32_e32 v4, vcc, v11, v4
	v_addc_co_u32_e32 v5, vcc, v12, v5, vcc
	s_waitcnt lgkmcnt(0)
	global_store_dwordx4 v[4:5], v[0:3], off
.LBB0_31:
	s_endpgm
	.section	.rodata,"a",@progbits
	.p2align	6, 0x0
	.amdhsa_kernel fft_rtc_fwd_len1716_factors_13_2_6_11_wgs_156_tpt_156_dp_ip_CI_unitstride_sbrr_C2R_dirReg
		.amdhsa_group_segment_fixed_size 0
		.amdhsa_private_segment_fixed_size 0
		.amdhsa_kernarg_size 88
		.amdhsa_user_sgpr_count 6
		.amdhsa_user_sgpr_private_segment_buffer 1
		.amdhsa_user_sgpr_dispatch_ptr 0
		.amdhsa_user_sgpr_queue_ptr 0
		.amdhsa_user_sgpr_kernarg_segment_ptr 1
		.amdhsa_user_sgpr_dispatch_id 0
		.amdhsa_user_sgpr_flat_scratch_init 0
		.amdhsa_user_sgpr_private_segment_size 0
		.amdhsa_uses_dynamic_stack 0
		.amdhsa_system_sgpr_private_segment_wavefront_offset 0
		.amdhsa_system_sgpr_workgroup_id_x 1
		.amdhsa_system_sgpr_workgroup_id_y 0
		.amdhsa_system_sgpr_workgroup_id_z 0
		.amdhsa_system_sgpr_workgroup_info 0
		.amdhsa_system_vgpr_workitem_id 0
		.amdhsa_next_free_vgpr 255
		.amdhsa_next_free_sgpr 46
		.amdhsa_reserve_vcc 1
		.amdhsa_reserve_flat_scratch 0
		.amdhsa_float_round_mode_32 0
		.amdhsa_float_round_mode_16_64 0
		.amdhsa_float_denorm_mode_32 3
		.amdhsa_float_denorm_mode_16_64 3
		.amdhsa_dx10_clamp 1
		.amdhsa_ieee_mode 1
		.amdhsa_fp16_overflow 0
		.amdhsa_exception_fp_ieee_invalid_op 0
		.amdhsa_exception_fp_denorm_src 0
		.amdhsa_exception_fp_ieee_div_zero 0
		.amdhsa_exception_fp_ieee_overflow 0
		.amdhsa_exception_fp_ieee_underflow 0
		.amdhsa_exception_fp_ieee_inexact 0
		.amdhsa_exception_int_div_zero 0
	.end_amdhsa_kernel
	.text
.Lfunc_end0:
	.size	fft_rtc_fwd_len1716_factors_13_2_6_11_wgs_156_tpt_156_dp_ip_CI_unitstride_sbrr_C2R_dirReg, .Lfunc_end0-fft_rtc_fwd_len1716_factors_13_2_6_11_wgs_156_tpt_156_dp_ip_CI_unitstride_sbrr_C2R_dirReg
                                        ; -- End function
	.section	.AMDGPU.csdata,"",@progbits
; Kernel info:
; codeLenInByte = 12896
; NumSgprs: 50
; NumVgprs: 255
; ScratchSize: 0
; MemoryBound: 0
; FloatMode: 240
; IeeeMode: 1
; LDSByteSize: 0 bytes/workgroup (compile time only)
; SGPRBlocks: 6
; VGPRBlocks: 63
; NumSGPRsForWavesPerEU: 50
; NumVGPRsForWavesPerEU: 255
; Occupancy: 1
; WaveLimiterHint : 1
; COMPUTE_PGM_RSRC2:SCRATCH_EN: 0
; COMPUTE_PGM_RSRC2:USER_SGPR: 6
; COMPUTE_PGM_RSRC2:TRAP_HANDLER: 0
; COMPUTE_PGM_RSRC2:TGID_X_EN: 1
; COMPUTE_PGM_RSRC2:TGID_Y_EN: 0
; COMPUTE_PGM_RSRC2:TGID_Z_EN: 0
; COMPUTE_PGM_RSRC2:TIDIG_COMP_CNT: 0
	.type	__hip_cuid_4a8a3ea4d417be83,@object ; @__hip_cuid_4a8a3ea4d417be83
	.section	.bss,"aw",@nobits
	.globl	__hip_cuid_4a8a3ea4d417be83
__hip_cuid_4a8a3ea4d417be83:
	.byte	0                               ; 0x0
	.size	__hip_cuid_4a8a3ea4d417be83, 1

	.ident	"AMD clang version 19.0.0git (https://github.com/RadeonOpenCompute/llvm-project roc-6.4.0 25133 c7fe45cf4b819c5991fe208aaa96edf142730f1d)"
	.section	".note.GNU-stack","",@progbits
	.addrsig
	.addrsig_sym __hip_cuid_4a8a3ea4d417be83
	.amdgpu_metadata
---
amdhsa.kernels:
  - .args:
      - .actual_access:  read_only
        .address_space:  global
        .offset:         0
        .size:           8
        .value_kind:     global_buffer
      - .offset:         8
        .size:           8
        .value_kind:     by_value
      - .actual_access:  read_only
        .address_space:  global
        .offset:         16
        .size:           8
        .value_kind:     global_buffer
      - .actual_access:  read_only
        .address_space:  global
        .offset:         24
        .size:           8
        .value_kind:     global_buffer
      - .offset:         32
        .size:           8
        .value_kind:     by_value
      - .actual_access:  read_only
        .address_space:  global
        .offset:         40
        .size:           8
        .value_kind:     global_buffer
      - .actual_access:  read_only
        .address_space:  global
        .offset:         48
        .size:           8
        .value_kind:     global_buffer
      - .offset:         56
        .size:           4
        .value_kind:     by_value
      - .actual_access:  read_only
        .address_space:  global
        .offset:         64
        .size:           8
        .value_kind:     global_buffer
      - .actual_access:  read_only
        .address_space:  global
        .offset:         72
        .size:           8
        .value_kind:     global_buffer
      - .address_space:  global
        .offset:         80
        .size:           8
        .value_kind:     global_buffer
    .group_segment_fixed_size: 0
    .kernarg_segment_align: 8
    .kernarg_segment_size: 88
    .language:       OpenCL C
    .language_version:
      - 2
      - 0
    .max_flat_workgroup_size: 156
    .name:           fft_rtc_fwd_len1716_factors_13_2_6_11_wgs_156_tpt_156_dp_ip_CI_unitstride_sbrr_C2R_dirReg
    .private_segment_fixed_size: 0
    .sgpr_count:     50
    .sgpr_spill_count: 0
    .symbol:         fft_rtc_fwd_len1716_factors_13_2_6_11_wgs_156_tpt_156_dp_ip_CI_unitstride_sbrr_C2R_dirReg.kd
    .uniform_work_group_size: 1
    .uses_dynamic_stack: false
    .vgpr_count:     255
    .vgpr_spill_count: 0
    .wavefront_size: 64
amdhsa.target:   amdgcn-amd-amdhsa--gfx906
amdhsa.version:
  - 1
  - 2
...

	.end_amdgpu_metadata
